;; amdgpu-corpus repo=ROCm/rocFFT kind=compiled arch=gfx1201 opt=O3
	.text
	.amdgcn_target "amdgcn-amd-amdhsa--gfx1201"
	.amdhsa_code_object_version 6
	.protected	fft_rtc_back_len1680_factors_2_2_2_2_3_7_5_wgs_112_tpt_112_halfLds_dp_op_CI_CI_unitstride_sbrr_R2C_dirReg ; -- Begin function fft_rtc_back_len1680_factors_2_2_2_2_3_7_5_wgs_112_tpt_112_halfLds_dp_op_CI_CI_unitstride_sbrr_R2C_dirReg
	.globl	fft_rtc_back_len1680_factors_2_2_2_2_3_7_5_wgs_112_tpt_112_halfLds_dp_op_CI_CI_unitstride_sbrr_R2C_dirReg
	.p2align	8
	.type	fft_rtc_back_len1680_factors_2_2_2_2_3_7_5_wgs_112_tpt_112_halfLds_dp_op_CI_CI_unitstride_sbrr_R2C_dirReg,@function
fft_rtc_back_len1680_factors_2_2_2_2_3_7_5_wgs_112_tpt_112_halfLds_dp_op_CI_CI_unitstride_sbrr_R2C_dirReg: ; @fft_rtc_back_len1680_factors_2_2_2_2_3_7_5_wgs_112_tpt_112_halfLds_dp_op_CI_CI_unitstride_sbrr_R2C_dirReg
; %bb.0:
	s_clause 0x2
	s_load_b128 s[8:11], s[0:1], 0x0
	s_load_b128 s[4:7], s[0:1], 0x58
	;; [unrolled: 1-line block ×3, first 2 shown]
	v_mul_u32_u24_e32 v1, 0x24a, v0
	v_mov_b32_e32 v3, 0
	s_delay_alu instid0(VALU_DEP_2) | instskip(NEXT) | instid1(VALU_DEP_1)
	v_lshrrev_b32_e32 v1, 16, v1
	v_add_nc_u32_e32 v5, ttmp9, v1
	v_mov_b32_e32 v1, 0
	v_mov_b32_e32 v2, 0
	;; [unrolled: 1-line block ×3, first 2 shown]
	s_wait_kmcnt 0x0
	v_cmp_lt_u64_e64 s2, s[10:11], 2
	s_delay_alu instid0(VALU_DEP_1)
	s_and_b32 vcc_lo, exec_lo, s2
	s_cbranch_vccnz .LBB0_8
; %bb.1:
	s_load_b64 s[2:3], s[0:1], 0x10
	v_mov_b32_e32 v1, 0
	v_mov_b32_e32 v2, 0
	s_add_nc_u64 s[16:17], s[14:15], 8
	s_add_nc_u64 s[18:19], s[12:13], 8
	s_mov_b64 s[20:21], 1
	s_delay_alu instid0(VALU_DEP_1)
	v_dual_mov_b32 v85, v2 :: v_dual_mov_b32 v84, v1
	s_wait_kmcnt 0x0
	s_add_nc_u64 s[22:23], s[2:3], 8
	s_mov_b32 s3, 0
.LBB0_2:                                ; =>This Inner Loop Header: Depth=1
	s_load_b64 s[24:25], s[22:23], 0x0
                                        ; implicit-def: $vgpr88_vgpr89
	s_mov_b32 s2, exec_lo
	s_wait_kmcnt 0x0
	v_or_b32_e32 v4, s25, v6
	s_delay_alu instid0(VALU_DEP_1)
	v_cmpx_ne_u64_e32 0, v[3:4]
	s_wait_alu 0xfffe
	s_xor_b32 s26, exec_lo, s2
	s_cbranch_execz .LBB0_4
; %bb.3:                                ;   in Loop: Header=BB0_2 Depth=1
	s_cvt_f32_u32 s2, s24
	s_cvt_f32_u32 s27, s25
	s_sub_nc_u64 s[30:31], 0, s[24:25]
	s_wait_alu 0xfffe
	s_delay_alu instid0(SALU_CYCLE_1) | instskip(SKIP_1) | instid1(SALU_CYCLE_2)
	s_fmamk_f32 s2, s27, 0x4f800000, s2
	s_wait_alu 0xfffe
	v_s_rcp_f32 s2, s2
	s_delay_alu instid0(TRANS32_DEP_1) | instskip(SKIP_1) | instid1(SALU_CYCLE_2)
	s_mul_f32 s2, s2, 0x5f7ffffc
	s_wait_alu 0xfffe
	s_mul_f32 s27, s2, 0x2f800000
	s_wait_alu 0xfffe
	s_delay_alu instid0(SALU_CYCLE_2) | instskip(SKIP_1) | instid1(SALU_CYCLE_2)
	s_trunc_f32 s27, s27
	s_wait_alu 0xfffe
	s_fmamk_f32 s2, s27, 0xcf800000, s2
	s_cvt_u32_f32 s29, s27
	s_wait_alu 0xfffe
	s_delay_alu instid0(SALU_CYCLE_1) | instskip(SKIP_1) | instid1(SALU_CYCLE_2)
	s_cvt_u32_f32 s28, s2
	s_wait_alu 0xfffe
	s_mul_u64 s[34:35], s[30:31], s[28:29]
	s_wait_alu 0xfffe
	s_mul_hi_u32 s37, s28, s35
	s_mul_i32 s36, s28, s35
	s_mul_hi_u32 s2, s28, s34
	s_mul_i32 s33, s29, s34
	s_wait_alu 0xfffe
	s_add_nc_u64 s[36:37], s[2:3], s[36:37]
	s_mul_hi_u32 s27, s29, s34
	s_mul_hi_u32 s38, s29, s35
	s_add_co_u32 s2, s36, s33
	s_wait_alu 0xfffe
	s_add_co_ci_u32 s2, s37, s27
	s_mul_i32 s34, s29, s35
	s_add_co_ci_u32 s35, s38, 0
	s_wait_alu 0xfffe
	s_add_nc_u64 s[34:35], s[2:3], s[34:35]
	s_wait_alu 0xfffe
	v_add_co_u32 v4, s2, s28, s34
	s_delay_alu instid0(VALU_DEP_1) | instskip(SKIP_1) | instid1(VALU_DEP_1)
	s_cmp_lg_u32 s2, 0
	s_add_co_ci_u32 s29, s29, s35
	v_readfirstlane_b32 s28, v4
	s_wait_alu 0xfffe
	s_delay_alu instid0(VALU_DEP_1)
	s_mul_u64 s[30:31], s[30:31], s[28:29]
	s_wait_alu 0xfffe
	s_mul_hi_u32 s35, s28, s31
	s_mul_i32 s34, s28, s31
	s_mul_hi_u32 s2, s28, s30
	s_mul_i32 s33, s29, s30
	s_wait_alu 0xfffe
	s_add_nc_u64 s[34:35], s[2:3], s[34:35]
	s_mul_hi_u32 s27, s29, s30
	s_mul_hi_u32 s28, s29, s31
	s_wait_alu 0xfffe
	s_add_co_u32 s2, s34, s33
	s_add_co_ci_u32 s2, s35, s27
	s_mul_i32 s30, s29, s31
	s_add_co_ci_u32 s31, s28, 0
	s_wait_alu 0xfffe
	s_add_nc_u64 s[30:31], s[2:3], s[30:31]
	s_wait_alu 0xfffe
	v_add_co_u32 v4, s2, v4, s30
	s_delay_alu instid0(VALU_DEP_1) | instskip(SKIP_1) | instid1(VALU_DEP_1)
	s_cmp_lg_u32 s2, 0
	s_add_co_ci_u32 s2, s29, s31
	v_mul_hi_u32 v13, v5, v4
	s_wait_alu 0xfffe
	v_mad_co_u64_u32 v[7:8], null, v5, s2, 0
	v_mad_co_u64_u32 v[9:10], null, v6, v4, 0
	;; [unrolled: 1-line block ×3, first 2 shown]
	s_delay_alu instid0(VALU_DEP_3) | instskip(SKIP_1) | instid1(VALU_DEP_4)
	v_add_co_u32 v4, vcc_lo, v13, v7
	s_wait_alu 0xfffd
	v_add_co_ci_u32_e32 v7, vcc_lo, 0, v8, vcc_lo
	s_delay_alu instid0(VALU_DEP_2) | instskip(SKIP_1) | instid1(VALU_DEP_2)
	v_add_co_u32 v4, vcc_lo, v4, v9
	s_wait_alu 0xfffd
	v_add_co_ci_u32_e32 v4, vcc_lo, v7, v10, vcc_lo
	s_wait_alu 0xfffd
	v_add_co_ci_u32_e32 v7, vcc_lo, 0, v12, vcc_lo
	s_delay_alu instid0(VALU_DEP_2) | instskip(SKIP_1) | instid1(VALU_DEP_2)
	v_add_co_u32 v4, vcc_lo, v4, v11
	s_wait_alu 0xfffd
	v_add_co_ci_u32_e32 v9, vcc_lo, 0, v7, vcc_lo
	s_delay_alu instid0(VALU_DEP_2) | instskip(SKIP_1) | instid1(VALU_DEP_3)
	v_mul_lo_u32 v10, s25, v4
	v_mad_co_u64_u32 v[7:8], null, s24, v4, 0
	v_mul_lo_u32 v11, s24, v9
	s_delay_alu instid0(VALU_DEP_2) | instskip(NEXT) | instid1(VALU_DEP_2)
	v_sub_co_u32 v7, vcc_lo, v5, v7
	v_add3_u32 v8, v8, v11, v10
	s_delay_alu instid0(VALU_DEP_1) | instskip(SKIP_1) | instid1(VALU_DEP_1)
	v_sub_nc_u32_e32 v10, v6, v8
	s_wait_alu 0xfffd
	v_subrev_co_ci_u32_e64 v10, s2, s25, v10, vcc_lo
	v_add_co_u32 v11, s2, v4, 2
	s_wait_alu 0xf1ff
	v_add_co_ci_u32_e64 v12, s2, 0, v9, s2
	v_sub_co_u32 v13, s2, v7, s24
	v_sub_co_ci_u32_e32 v8, vcc_lo, v6, v8, vcc_lo
	s_wait_alu 0xf1ff
	v_subrev_co_ci_u32_e64 v10, s2, 0, v10, s2
	s_delay_alu instid0(VALU_DEP_3) | instskip(NEXT) | instid1(VALU_DEP_3)
	v_cmp_le_u32_e32 vcc_lo, s24, v13
	v_cmp_eq_u32_e64 s2, s25, v8
	s_wait_alu 0xfffd
	v_cndmask_b32_e64 v13, 0, -1, vcc_lo
	v_cmp_le_u32_e32 vcc_lo, s25, v10
	s_wait_alu 0xfffd
	v_cndmask_b32_e64 v14, 0, -1, vcc_lo
	v_cmp_le_u32_e32 vcc_lo, s24, v7
	;; [unrolled: 3-line block ×3, first 2 shown]
	s_wait_alu 0xfffd
	v_cndmask_b32_e64 v15, 0, -1, vcc_lo
	v_cmp_eq_u32_e32 vcc_lo, s25, v10
	s_wait_alu 0xf1ff
	s_delay_alu instid0(VALU_DEP_2)
	v_cndmask_b32_e64 v7, v15, v7, s2
	s_wait_alu 0xfffd
	v_cndmask_b32_e32 v10, v14, v13, vcc_lo
	v_add_co_u32 v13, vcc_lo, v4, 1
	s_wait_alu 0xfffd
	v_add_co_ci_u32_e32 v14, vcc_lo, 0, v9, vcc_lo
	s_delay_alu instid0(VALU_DEP_3) | instskip(SKIP_1) | instid1(VALU_DEP_2)
	v_cmp_ne_u32_e32 vcc_lo, 0, v10
	s_wait_alu 0xfffd
	v_cndmask_b32_e32 v8, v14, v12, vcc_lo
	v_cndmask_b32_e32 v10, v13, v11, vcc_lo
	v_cmp_ne_u32_e32 vcc_lo, 0, v7
	s_wait_alu 0xfffd
	s_delay_alu instid0(VALU_DEP_2)
	v_dual_cndmask_b32 v89, v9, v8 :: v_dual_cndmask_b32 v88, v4, v10
.LBB0_4:                                ;   in Loop: Header=BB0_2 Depth=1
	s_wait_alu 0xfffe
	s_and_not1_saveexec_b32 s2, s26
	s_cbranch_execz .LBB0_6
; %bb.5:                                ;   in Loop: Header=BB0_2 Depth=1
	v_cvt_f32_u32_e32 v4, s24
	s_sub_co_i32 s26, 0, s24
	v_mov_b32_e32 v89, v3
	s_delay_alu instid0(VALU_DEP_2) | instskip(NEXT) | instid1(TRANS32_DEP_1)
	v_rcp_iflag_f32_e32 v4, v4
	v_mul_f32_e32 v4, 0x4f7ffffe, v4
	s_delay_alu instid0(VALU_DEP_1) | instskip(SKIP_1) | instid1(VALU_DEP_1)
	v_cvt_u32_f32_e32 v4, v4
	s_wait_alu 0xfffe
	v_mul_lo_u32 v7, s26, v4
	s_delay_alu instid0(VALU_DEP_1) | instskip(NEXT) | instid1(VALU_DEP_1)
	v_mul_hi_u32 v7, v4, v7
	v_add_nc_u32_e32 v4, v4, v7
	s_delay_alu instid0(VALU_DEP_1) | instskip(NEXT) | instid1(VALU_DEP_1)
	v_mul_hi_u32 v4, v5, v4
	v_mul_lo_u32 v7, v4, s24
	v_add_nc_u32_e32 v8, 1, v4
	s_delay_alu instid0(VALU_DEP_2) | instskip(NEXT) | instid1(VALU_DEP_1)
	v_sub_nc_u32_e32 v7, v5, v7
	v_subrev_nc_u32_e32 v9, s24, v7
	v_cmp_le_u32_e32 vcc_lo, s24, v7
	s_wait_alu 0xfffd
	s_delay_alu instid0(VALU_DEP_2) | instskip(NEXT) | instid1(VALU_DEP_1)
	v_dual_cndmask_b32 v7, v7, v9 :: v_dual_cndmask_b32 v4, v4, v8
	v_cmp_le_u32_e32 vcc_lo, s24, v7
	s_delay_alu instid0(VALU_DEP_2) | instskip(SKIP_1) | instid1(VALU_DEP_1)
	v_add_nc_u32_e32 v8, 1, v4
	s_wait_alu 0xfffd
	v_cndmask_b32_e32 v88, v4, v8, vcc_lo
.LBB0_6:                                ;   in Loop: Header=BB0_2 Depth=1
	s_wait_alu 0xfffe
	s_or_b32 exec_lo, exec_lo, s2
	v_mul_lo_u32 v4, v89, s24
	s_delay_alu instid0(VALU_DEP_2)
	v_mul_lo_u32 v9, v88, s25
	s_load_b64 s[26:27], s[18:19], 0x0
	v_mad_co_u64_u32 v[7:8], null, v88, s24, 0
	s_load_b64 s[24:25], s[16:17], 0x0
	s_add_nc_u64 s[20:21], s[20:21], 1
	s_add_nc_u64 s[16:17], s[16:17], 8
	s_wait_alu 0xfffe
	v_cmp_ge_u64_e64 s2, s[20:21], s[10:11]
	s_add_nc_u64 s[18:19], s[18:19], 8
	s_add_nc_u64 s[22:23], s[22:23], 8
	v_add3_u32 v4, v8, v9, v4
	v_sub_co_u32 v5, vcc_lo, v5, v7
	s_wait_alu 0xfffd
	s_delay_alu instid0(VALU_DEP_2) | instskip(SKIP_2) | instid1(VALU_DEP_1)
	v_sub_co_ci_u32_e32 v4, vcc_lo, v6, v4, vcc_lo
	s_and_b32 vcc_lo, exec_lo, s2
	s_wait_kmcnt 0x0
	v_mul_lo_u32 v6, s26, v4
	v_mul_lo_u32 v7, s27, v5
	v_mad_co_u64_u32 v[1:2], null, s26, v5, v[1:2]
	v_mul_lo_u32 v4, s24, v4
	v_mul_lo_u32 v8, s25, v5
	v_mad_co_u64_u32 v[84:85], null, s24, v5, v[84:85]
	s_delay_alu instid0(VALU_DEP_4) | instskip(NEXT) | instid1(VALU_DEP_2)
	v_add3_u32 v2, v7, v2, v6
	v_add3_u32 v85, v8, v85, v4
	s_wait_alu 0xfffe
	s_cbranch_vccnz .LBB0_9
; %bb.7:                                ;   in Loop: Header=BB0_2 Depth=1
	v_dual_mov_b32 v5, v88 :: v_dual_mov_b32 v6, v89
	s_branch .LBB0_2
.LBB0_8:
	v_dual_mov_b32 v85, v2 :: v_dual_mov_b32 v84, v1
	v_dual_mov_b32 v89, v6 :: v_dual_mov_b32 v88, v5
.LBB0_9:
	s_load_b64 s[0:1], s[0:1], 0x28
	v_mul_hi_u32 v3, 0x2492493, v0
	s_lshl_b64 s[10:11], s[10:11], 3
                                        ; implicit-def: $vgpr86
                                        ; implicit-def: $vgpr91
                                        ; implicit-def: $vgpr97
                                        ; implicit-def: $vgpr96
                                        ; implicit-def: $vgpr95
                                        ; implicit-def: $vgpr94
                                        ; implicit-def: $vgpr93
                                        ; implicit-def: $vgpr90
	s_wait_kmcnt 0x0
	v_cmp_gt_u64_e32 vcc_lo, s[0:1], v[88:89]
	v_cmp_le_u64_e64 s0, s[0:1], v[88:89]
	s_delay_alu instid0(VALU_DEP_1)
	s_and_saveexec_b32 s1, s0
	s_wait_alu 0xfffe
	s_xor_b32 s0, exec_lo, s1
; %bb.10:
	v_mul_u32_u24_e32 v1, 0x70, v3
                                        ; implicit-def: $vgpr3
	s_delay_alu instid0(VALU_DEP_1) | instskip(NEXT) | instid1(VALU_DEP_1)
	v_sub_nc_u32_e32 v86, v0, v1
                                        ; implicit-def: $vgpr0
                                        ; implicit-def: $vgpr1_vgpr2
	v_add_nc_u32_e32 v91, 0x70, v86
	v_add_nc_u32_e32 v97, 0xe0, v86
	;; [unrolled: 1-line block ×7, first 2 shown]
; %bb.11:
	s_wait_alu 0xfffe
	s_or_saveexec_b32 s1, s0
	s_add_nc_u64 s[2:3], s[14:15], s[10:11]
	s_wait_alu 0xfffe
	s_xor_b32 exec_lo, exec_lo, s1
	s_cbranch_execz .LBB0_13
; %bb.12:
	s_add_nc_u64 s[10:11], s[12:13], s[10:11]
	v_lshlrev_b64_e32 v[1:2], 4, v[1:2]
	s_load_b64 s[10:11], s[10:11], 0x0
	s_wait_kmcnt 0x0
	v_mul_lo_u32 v6, s11, v88
	v_mul_lo_u32 v7, s10, v89
	v_mad_co_u64_u32 v[4:5], null, s10, v88, 0
	s_delay_alu instid0(VALU_DEP_1) | instskip(SKIP_1) | instid1(VALU_DEP_2)
	v_add3_u32 v5, v5, v7, v6
	v_mul_u32_u24_e32 v6, 0x70, v3
	v_lshlrev_b64_e32 v[3:4], 4, v[4:5]
	s_delay_alu instid0(VALU_DEP_2) | instskip(NEXT) | instid1(VALU_DEP_1)
	v_sub_nc_u32_e32 v86, v0, v6
	v_lshlrev_b32_e32 v60, 4, v86
	s_delay_alu instid0(VALU_DEP_3) | instskip(SKIP_1) | instid1(VALU_DEP_4)
	v_add_co_u32 v0, s0, s4, v3
	s_wait_alu 0xf1ff
	v_add_co_ci_u32_e64 v3, s0, s5, v4, s0
	v_add_nc_u32_e32 v91, 0x70, v86
	s_delay_alu instid0(VALU_DEP_3) | instskip(SKIP_1) | instid1(VALU_DEP_3)
	v_add_co_u32 v0, s0, v0, v1
	s_wait_alu 0xf1ff
	v_add_co_ci_u32_e64 v1, s0, v3, v2, s0
	v_add_nc_u32_e32 v97, 0xe0, v86
	s_delay_alu instid0(VALU_DEP_3) | instskip(SKIP_1) | instid1(VALU_DEP_3)
	v_add_co_u32 v56, s0, v0, v60
	s_wait_alu 0xf1ff
	v_add_co_ci_u32_e64 v57, s0, 0, v1, s0
	s_clause 0xe
	global_load_b128 v[0:3], v[56:57], off
	global_load_b128 v[4:7], v[56:57], off offset:1792
	global_load_b128 v[8:11], v[56:57], off offset:3584
	;; [unrolled: 1-line block ×14, first 2 shown]
	v_add_nc_u32_e32 v96, 0x150, v86
	v_add_nc_u32_e32 v60, 0, v60
	;; [unrolled: 1-line block ×6, first 2 shown]
	s_wait_loadcnt 0xe
	ds_store_b128 v60, v[0:3]
	s_wait_loadcnt 0xd
	ds_store_b128 v60, v[4:7] offset:1792
	s_wait_loadcnt 0xc
	ds_store_b128 v60, v[8:11] offset:3584
	;; [unrolled: 2-line block ×14, first 2 shown]
.LBB0_13:
	s_or_b32 exec_lo, exec_lo, s1
	v_lshlrev_b32_e32 v87, 4, v86
	s_load_b64 s[2:3], s[2:3], 0x0
	global_wb scope:SCOPE_SE
	s_wait_dscnt 0x0
	s_wait_kmcnt 0x0
	s_barrier_signal -1
	s_barrier_wait -1
	v_add_nc_u32_e32 v100, 0, v87
	global_inv scope:SCOPE_SE
	v_lshl_add_u32 v72, v91, 5, 0
	v_lshl_add_u32 v73, v97, 5, 0
	;; [unrolled: 1-line block ×3, first 2 shown]
	ds_load_b128 v[0:3], v100 offset:13440
	ds_load_b128 v[8:11], v100
	ds_load_b128 v[12:15], v100 offset:1792
	ds_load_b128 v[4:7], v100 offset:15232
	;; [unrolled: 1-line block ×14, first 2 shown]
	v_lshl_add_u32 v75, v95, 5, 0
	v_lshl_add_u32 v76, v94, 5, 0
	;; [unrolled: 1-line block ×3, first 2 shown]
	v_cmp_gt_u32_e64 s0, 56, v86
	global_wb scope:SCOPE_SE
	s_wait_dscnt 0x0
	v_add_f64_e64 v[64:65], v[8:9], -v[0:1]
	v_add_f64_e64 v[66:67], v[10:11], -v[2:3]
	;; [unrolled: 1-line block ×16, first 2 shown]
	s_barrier_signal -1
	s_barrier_wait -1
	global_inv scope:SCOPE_SE
	v_fma_f64 v[8:9], v[8:9], 2.0, -v[64:65]
	v_fma_f64 v[10:11], v[10:11], 2.0, -v[66:67]
	;; [unrolled: 1-line block ×16, first 2 shown]
	v_add_nc_u32_e32 v56, v100, v87
	ds_store_b128 v56, v[8:11]
	ds_store_b128 v56, v[64:67] offset:16
	ds_store_b128 v72, v[12:15]
	ds_store_b128 v72, v[68:71] offset:16
	;; [unrolled: 2-line block ×7, first 2 shown]
	s_and_saveexec_b32 s1, s0
	s_cbranch_execz .LBB0_15
; %bb.14:
	v_lshl_add_u32 v8, v90, 5, 0
	ds_store_b128 v8, v[0:3]
	ds_store_b128 v8, v[4:7] offset:16
.LBB0_15:
	s_wait_alu 0xfffe
	s_or_b32 exec_lo, exec_lo, s1
	v_lshlrev_b32_e32 v71, 4, v91
	v_lshlrev_b32_e32 v81, 4, v96
	;; [unrolled: 1-line block ×6, first 2 shown]
	v_sub_nc_u32_e32 v12, v72, v71
	v_sub_nc_u32_e32 v20, v74, v81
	;; [unrolled: 1-line block ×6, first 2 shown]
	global_wb scope:SCOPE_SE
	s_wait_dscnt 0x0
	s_barrier_signal -1
	s_barrier_wait -1
	global_inv scope:SCOPE_SE
	ds_load_b128 v[8:11], v100
	ds_load_b128 v[36:39], v100 offset:13440
	ds_load_b128 v[16:19], v12
	ds_load_b128 v[12:15], v13
	ds_load_b128 v[44:47], v100 offset:15232
	ds_load_b128 v[40:43], v100 offset:17024
	ds_load_b128 v[28:31], v20
	ds_load_b128 v[20:23], v21
	ds_load_b128 v[56:59], v100 offset:18816
	;; [unrolled: 4-line block ×3, first 2 shown]
	ds_load_b128 v[52:55], v100 offset:24192
	v_lshlrev_b32_e32 v69, 1, v91
	v_lshlrev_b32_e32 v68, 1, v97
	v_lshlrev_b32_e32 v67, 1, v96
	v_lshlrev_b32_e32 v66, 1, v95
	v_lshlrev_b32_e32 v65, 1, v94
	v_lshlrev_b32_e32 v64, 1, v93
	v_lshl_add_u32 v99, v90, 4, 0
	s_and_saveexec_b32 s1, s0
	s_cbranch_execz .LBB0_17
; %bb.16:
	ds_load_b128 v[0:3], v99
	ds_load_b128 v[4:7], v100 offset:25984
.LBB0_17:
	s_wait_alu 0xfffe
	s_or_b32 exec_lo, exec_lo, s1
	v_and_b32_e32 v82, 1, v86
	s_delay_alu instid0(VALU_DEP_1)
	v_lshlrev_b32_e32 v83, 4, v82
	global_load_b128 v[101:104], v83, s[8:9]
	v_and_or_b32 v83, 0x7fc, v64, v82
	global_wb scope:SCOPE_SE
	s_wait_loadcnt_dscnt 0x0
	s_barrier_signal -1
	s_barrier_wait -1
	global_inv scope:SCOPE_SE
	v_lshl_add_u32 v83, v83, 4, 0
	v_mul_f64_e32 v[105:106], v[38:39], v[103:104]
	v_mul_f64_e32 v[107:108], v[36:37], v[103:104]
	;; [unrolled: 1-line block ×16, first 2 shown]
	v_fma_f64 v[36:37], v[36:37], v[101:102], v[105:106]
	v_fma_f64 v[105:106], v[38:39], v[101:102], -v[107:108]
	v_fma_f64 v[44:45], v[44:45], v[101:102], v[109:110]
	v_fma_f64 v[46:47], v[46:47], v[101:102], -v[111:112]
	;; [unrolled: 2-line block ×8, first 2 shown]
	v_sub_nc_u32_e32 v38, 0, v71
	v_lshlrev_b32_e32 v71, 1, v86
	v_add_f64_e64 v[39:40], v[8:9], -v[36:37]
	v_add_f64_e64 v[41:42], v[10:11], -v[105:106]
	;; [unrolled: 1-line block ×16, first 2 shown]
	v_and_or_b32 v63, 0x1fc, v69, v82
	v_sub_nc_u32_e32 v37, 0, v78
	v_and_or_b32 v78, 0x3fc, v68, v82
	v_sub_nc_u32_e32 v36, 0, v81
	v_and_or_b32 v81, 0x5fc, v65, v82
	v_lshl_add_u32 v63, v63, 4, 0
	s_delay_alu instid0(VALU_DEP_4) | instskip(NEXT) | instid1(VALU_DEP_3)
	v_lshl_add_u32 v78, v78, 4, 0
	v_lshl_add_u32 v81, v81, 4, 0
	v_fma_f64 v[8:9], v[8:9], 2.0, -v[39:40]
	v_fma_f64 v[10:11], v[10:11], 2.0, -v[41:42]
	;; [unrolled: 1-line block ×16, first 2 shown]
	v_and_or_b32 v27, 0xfc, v71, v82
	v_sub_nc_u32_e32 v26, 0, v70
	v_sub_nc_u32_e32 v25, 0, v79
	;; [unrolled: 1-line block ×3, first 2 shown]
	v_lshlrev_b32_e32 v70, 1, v90
	v_and_or_b32 v79, 0x3fc, v67, v82
	v_and_or_b32 v80, 0x7fc, v66, v82
	v_lshl_add_u32 v27, v27, 4, 0
	s_delay_alu instid0(VALU_DEP_3) | instskip(NEXT) | instid1(VALU_DEP_3)
	v_lshl_add_u32 v79, v79, 4, 0
	v_lshl_add_u32 v80, v80, 4, 0
	ds_store_b128 v27, v[8:11]
	ds_store_b128 v27, v[39:42] offset:32
	ds_store_b128 v63, v[16:19]
	ds_store_b128 v63, v[43:46] offset:32
	;; [unrolled: 2-line block ×7, first 2 shown]
	s_and_saveexec_b32 s1, s0
	s_cbranch_execz .LBB0_19
; %bb.18:
	v_and_or_b32 v8, 0x6fc, v70, v82
	s_delay_alu instid0(VALU_DEP_1)
	v_lshl_add_u32 v8, v8, 4, 0
	ds_store_b128 v8, v[0:3]
	ds_store_b128 v8, v[4:7] offset:32
.LBB0_19:
	s_wait_alu 0xfffe
	s_or_b32 exec_lo, exec_lo, s1
	v_add_nc_u32_e32 v104, v74, v36
	v_add_nc_u32_e32 v103, v75, v26
	;; [unrolled: 1-line block ×5, first 2 shown]
	global_wb scope:SCOPE_SE
	s_wait_dscnt 0x0
	s_barrier_signal -1
	s_barrier_wait -1
	global_inv scope:SCOPE_SE
	ds_load_b128 v[16:19], v100
	ds_load_b128 v[8:11], v100 offset:13440
	ds_load_b128 v[20:23], v106
	ds_load_b128 v[12:15], v105
	ds_load_b128 v[44:47], v100 offset:15232
	ds_load_b128 v[40:43], v100 offset:17024
	v_add_nc_u32_e32 v101, v77, v24
	ds_load_b128 v[32:35], v104
	ds_load_b128 v[24:27], v103
	ds_load_b128 v[56:59], v100 offset:18816
	ds_load_b128 v[48:51], v100 offset:20608
	ds_load_b128 v[36:39], v102
	ds_load_b128 v[28:31], v101
	ds_load_b128 v[60:63], v100 offset:22400
	ds_load_b128 v[52:55], v100 offset:24192
	s_and_saveexec_b32 s1, s0
	s_cbranch_execz .LBB0_21
; %bb.20:
	ds_load_b128 v[0:3], v99
	ds_load_b128 v[4:7], v100 offset:25984
.LBB0_21:
	s_wait_alu 0xfffe
	s_or_b32 exec_lo, exec_lo, s1
	v_and_b32_e32 v72, 3, v86
	s_delay_alu instid0(VALU_DEP_1)
	v_lshlrev_b32_e32 v73, 4, v72
	global_load_b128 v[73:76], v73, s[8:9] offset:32
	global_wb scope:SCOPE_SE
	s_wait_loadcnt_dscnt 0x0
	s_barrier_signal -1
	s_barrier_wait -1
	global_inv scope:SCOPE_SE
	v_mul_f64_e32 v[77:78], v[10:11], v[75:76]
	v_mul_f64_e32 v[79:80], v[8:9], v[75:76]
	v_mul_f64_e32 v[81:82], v[46:47], v[75:76]
	v_mul_f64_e32 v[107:108], v[44:45], v[75:76]
	v_mul_f64_e32 v[109:110], v[42:43], v[75:76]
	v_mul_f64_e32 v[111:112], v[40:41], v[75:76]
	v_mul_f64_e32 v[113:114], v[58:59], v[75:76]
	v_mul_f64_e32 v[115:116], v[56:57], v[75:76]
	v_mul_f64_e32 v[117:118], v[50:51], v[75:76]
	v_mul_f64_e32 v[119:120], v[48:49], v[75:76]
	v_mul_f64_e32 v[121:122], v[62:63], v[75:76]
	v_mul_f64_e32 v[123:124], v[60:61], v[75:76]
	v_mul_f64_e32 v[125:126], v[54:55], v[75:76]
	v_mul_f64_e32 v[127:128], v[52:53], v[75:76]
	v_mul_f64_e32 v[129:130], v[6:7], v[75:76]
	v_mul_f64_e32 v[75:76], v[4:5], v[75:76]
	v_fma_f64 v[8:9], v[8:9], v[73:74], v[77:78]
	v_fma_f64 v[10:11], v[10:11], v[73:74], -v[79:80]
	v_fma_f64 v[44:45], v[44:45], v[73:74], v[81:82]
	v_fma_f64 v[46:47], v[46:47], v[73:74], -v[107:108]
	;; [unrolled: 2-line block ×8, first 2 shown]
	v_add_f64_e64 v[40:41], v[16:17], -v[8:9]
	v_add_f64_e64 v[42:43], v[18:19], -v[10:11]
	;; [unrolled: 1-line block ×16, first 2 shown]
	v_and_or_b32 v77, 0x7f8, v66, v72
	v_and_or_b32 v78, 0x5f8, v65, v72
	v_and_or_b32 v79, 0x7f8, v64, v72
	s_delay_alu instid0(VALU_DEP_3) | instskip(NEXT) | instid1(VALU_DEP_3)
	v_lshl_add_u32 v77, v77, 4, 0
	v_lshl_add_u32 v78, v78, 4, 0
	s_delay_alu instid0(VALU_DEP_3)
	v_lshl_add_u32 v79, v79, 4, 0
	v_fma_f64 v[16:17], v[16:17], 2.0, -v[40:41]
	v_fma_f64 v[18:19], v[18:19], 2.0, -v[42:43]
	;; [unrolled: 1-line block ×16, first 2 shown]
	v_and_or_b32 v0, 0xf8, v71, v72
	v_and_or_b32 v1, 0x1f8, v69, v72
	;; [unrolled: 1-line block ×4, first 2 shown]
	s_delay_alu instid0(VALU_DEP_4) | instskip(NEXT) | instid1(VALU_DEP_4)
	v_lshl_add_u32 v0, v0, 4, 0
	v_lshl_add_u32 v1, v1, 4, 0
	s_delay_alu instid0(VALU_DEP_4) | instskip(NEXT) | instid1(VALU_DEP_4)
	v_lshl_add_u32 v2, v2, 4, 0
	v_lshl_add_u32 v3, v3, 4, 0
	ds_store_b128 v0, v[16:19]
	ds_store_b128 v0, v[40:43] offset:64
	ds_store_b128 v1, v[20:23]
	ds_store_b128 v1, v[44:47] offset:64
	;; [unrolled: 2-line block ×7, first 2 shown]
	s_and_saveexec_b32 s1, s0
	s_cbranch_execz .LBB0_23
; %bb.22:
	v_and_or_b32 v0, 0x6f8, v70, v72
	s_delay_alu instid0(VALU_DEP_1)
	v_lshl_add_u32 v0, v0, 4, 0
	ds_store_b128 v0, v[4:7]
	ds_store_b128 v0, v[8:11] offset:64
.LBB0_23:
	s_wait_alu 0xfffe
	s_or_b32 exec_lo, exec_lo, s1
	global_wb scope:SCOPE_SE
	s_wait_dscnt 0x0
	s_barrier_signal -1
	s_barrier_wait -1
	global_inv scope:SCOPE_SE
	ds_load_b128 v[12:15], v100
	ds_load_b128 v[36:39], v100 offset:13440
	ds_load_b128 v[16:19], v106
	ds_load_b128 v[20:23], v105
	ds_load_b128 v[44:47], v100 offset:15232
	ds_load_b128 v[40:43], v100 offset:17024
	ds_load_b128 v[24:27], v104
	ds_load_b128 v[28:31], v103
	ds_load_b128 v[52:55], v100 offset:18816
	;; [unrolled: 4-line block ×3, first 2 shown]
	ds_load_b128 v[56:59], v100 offset:24192
	s_and_saveexec_b32 s1, s0
	s_cbranch_execz .LBB0_25
; %bb.24:
	ds_load_b128 v[4:7], v99
	ds_load_b128 v[8:11], v100 offset:25984
.LBB0_25:
	s_wait_alu 0xfffe
	s_or_b32 exec_lo, exec_lo, s1
	v_and_b32_e32 v72, 7, v86
	s_delay_alu instid0(VALU_DEP_1)
	v_lshlrev_b32_e32 v73, 4, v72
	v_and_or_b32 v71, 0xf0, v71, v72
	v_and_or_b32 v69, 0x1f0, v69, v72
	;; [unrolled: 1-line block ×4, first 2 shown]
	global_load_b128 v[73:76], v73, s[8:9] offset:96
	v_and_or_b32 v66, 0x7f0, v66, v72
	v_and_or_b32 v65, 0x5f0, v65, v72
	;; [unrolled: 1-line block ×3, first 2 shown]
	v_lshl_add_u32 v71, v71, 4, 0
	v_lshl_add_u32 v69, v69, 4, 0
	;; [unrolled: 1-line block ×3, first 2 shown]
	global_wb scope:SCOPE_SE
	s_wait_loadcnt_dscnt 0x0
	s_barrier_signal -1
	s_barrier_wait -1
	global_inv scope:SCOPE_SE
	v_lshl_add_u32 v67, v67, 4, 0
	v_lshl_add_u32 v66, v66, 4, 0
	;; [unrolled: 1-line block ×4, first 2 shown]
	v_mul_f64_e32 v[77:78], v[38:39], v[75:76]
	v_mul_f64_e32 v[79:80], v[36:37], v[75:76]
	;; [unrolled: 1-line block ×14, first 2 shown]
	v_fma_f64 v[36:37], v[36:37], v[73:74], v[77:78]
	v_fma_f64 v[38:39], v[38:39], v[73:74], -v[79:80]
	v_fma_f64 v[44:45], v[44:45], v[73:74], v[81:82]
	v_fma_f64 v[46:47], v[46:47], v[73:74], -v[107:108]
	;; [unrolled: 2-line block ×7, first 2 shown]
	v_mul_f64_e32 v[113:114], v[10:11], v[75:76]
	v_mul_f64_e32 v[75:76], v[8:9], v[75:76]
	v_add_f64_e64 v[36:37], v[12:13], -v[36:37]
	v_add_f64_e64 v[38:39], v[14:15], -v[38:39]
	;; [unrolled: 1-line block ×14, first 2 shown]
	v_fma_f64 v[77:78], v[8:9], v[73:74], v[113:114]
	v_fma_f64 v[73:74], v[10:11], v[73:74], -v[75:76]
	v_fma_f64 v[8:9], v[12:13], 2.0, -v[36:37]
	v_fma_f64 v[10:11], v[14:15], 2.0, -v[38:39]
	;; [unrolled: 1-line block ×14, first 2 shown]
	v_add_f64_e64 v[0:1], v[4:5], -v[77:78]
	v_add_f64_e64 v[2:3], v[6:7], -v[73:74]
	ds_store_b128 v71, v[8:11]
	ds_store_b128 v71, v[36:39] offset:128
	ds_store_b128 v69, v[12:15]
	ds_store_b128 v69, v[40:43] offset:128
	;; [unrolled: 2-line block ×7, first 2 shown]
	s_and_saveexec_b32 s1, s0
	s_cbranch_execz .LBB0_27
; %bb.26:
	v_fma_f64 v[6:7], v[6:7], 2.0, -v[2:3]
	v_fma_f64 v[4:5], v[4:5], 2.0, -v[0:1]
	v_and_or_b32 v8, 0x6f0, v70, v72
	s_delay_alu instid0(VALU_DEP_1)
	v_lshl_add_u32 v8, v8, 4, 0
	ds_store_b128 v8, v[4:7]
	ds_store_b128 v8, v[0:3] offset:128
.LBB0_27:
	s_wait_alu 0xfffe
	s_or_b32 exec_lo, exec_lo, s1
	v_and_b32_e32 v92, 15, v86
	global_wb scope:SCOPE_SE
	s_wait_dscnt 0x0
	s_barrier_signal -1
	s_barrier_wait -1
	global_inv scope:SCOPE_SE
	v_lshlrev_b32_e32 v8, 5, v92
	s_mov_b32 s4, 0xe8584caa
	s_mov_b32 s5, 0xbfebb67a
	;; [unrolled: 1-line block ×3, first 2 shown]
	s_wait_alu 0xfffe
	s_mov_b32 s10, s4
	s_clause 0x1
	global_load_b128 v[4:7], v8, s[8:9] offset:224
	global_load_b128 v[8:11], v8, s[8:9] offset:240
	ds_load_b128 v[12:15], v102
	ds_load_b128 v[16:19], v100 offset:17920
	ds_load_b128 v[20:23], v100 offset:10752
	ds_load_b128 v[24:27], v100 offset:19712
	ds_load_b128 v[28:31], v100 offset:12544
	ds_load_b128 v[32:35], v100 offset:21504
	ds_load_b128 v[36:39], v100 offset:14336
	ds_load_b128 v[40:43], v100 offset:23296
	ds_load_b128 v[44:47], v100 offset:16128
	ds_load_b128 v[48:51], v100 offset:25088
	v_lshrrev_b32_e32 v98, 4, v86
	v_cmp_gt_u32_e64 s1, 16, v86
	s_wait_loadcnt_dscnt 0x109
	v_mul_f64_e32 v[52:53], v[14:15], v[6:7]
	v_mul_f64_e32 v[54:55], v[12:13], v[6:7]
	s_wait_loadcnt_dscnt 0x8
	v_mul_f64_e32 v[56:57], v[18:19], v[10:11]
	v_mul_f64_e32 v[58:59], v[16:17], v[10:11]
	s_wait_dscnt 0x7
	v_mul_f64_e32 v[60:61], v[22:23], v[6:7]
	v_mul_f64_e32 v[62:63], v[20:21], v[6:7]
	s_wait_dscnt 0x6
	;; [unrolled: 3-line block ×7, first 2 shown]
	v_mul_f64_e32 v[107:108], v[46:47], v[6:7]
	s_wait_dscnt 0x0
	v_mul_f64_e32 v[109:110], v[50:51], v[10:11]
	v_mul_f64_e32 v[6:7], v[44:45], v[6:7]
	v_mul_f64_e32 v[10:11], v[48:49], v[10:11]
	v_fma_f64 v[52:53], v[12:13], v[4:5], v[52:53]
	v_fma_f64 v[54:55], v[14:15], v[4:5], -v[54:55]
	v_fma_f64 v[56:57], v[16:17], v[8:9], v[56:57]
	v_fma_f64 v[58:59], v[18:19], v[8:9], -v[58:59]
	;; [unrolled: 2-line block ×8, first 2 shown]
	v_fma_f64 v[44:45], v[44:45], v[4:5], v[107:108]
	v_fma_f64 v[48:49], v[48:49], v[8:9], v[109:110]
	v_fma_f64 v[46:47], v[46:47], v[4:5], -v[6:7]
	v_fma_f64 v[50:51], v[50:51], v[8:9], -v[10:11]
	ds_load_b128 v[4:7], v100
	ds_load_b128 v[8:11], v106
	;; [unrolled: 1-line block ×5, first 2 shown]
	global_wb scope:SCOPE_SE
	s_wait_dscnt 0x0
	s_barrier_signal -1
	s_barrier_wait -1
	global_inv scope:SCOPE_SE
	v_add_f64_e32 v[107:108], v[4:5], v[52:53]
	v_add_f64_e32 v[64:65], v[52:53], v[56:57]
	;; [unrolled: 1-line block ×3, first 2 shown]
	v_add_f64_e64 v[109:110], v[54:55], -v[58:59]
	v_add_f64_e32 v[68:69], v[60:61], v[24:25]
	v_add_f64_e32 v[70:71], v[62:63], v[26:27]
	;; [unrolled: 1-line block ×3, first 2 shown]
	v_add_f64_e64 v[52:53], v[52:53], -v[56:57]
	v_add_f64_e32 v[72:73], v[28:29], v[32:33]
	v_add_f64_e32 v[74:75], v[30:31], v[34:35]
	;; [unrolled: 1-line block ×10, first 2 shown]
	v_add_f64_e64 v[62:63], v[62:63], -v[26:27]
	v_add_f64_e64 v[60:61], v[60:61], -v[24:25]
	v_add_f64_e32 v[119:120], v[16:17], v[36:37]
	v_add_f64_e32 v[121:122], v[18:19], v[38:39]
	;; [unrolled: 1-line block ×4, first 2 shown]
	v_add_f64_e64 v[127:128], v[38:39], -v[42:43]
	v_add_f64_e64 v[129:130], v[36:37], -v[40:41]
	;; [unrolled: 1-line block ×4, first 2 shown]
	v_fma_f64 v[4:5], v[64:65], -0.5, v[4:5]
	v_fma_f64 v[6:7], v[66:67], -0.5, v[6:7]
	;; [unrolled: 1-line block ×4, first 2 shown]
	v_add_f64_e64 v[68:69], v[30:31], -v[34:35]
	v_add_f64_e32 v[8:9], v[107:108], v[56:57]
	v_fma_f64 v[70:71], v[72:73], -0.5, v[12:13]
	v_add_f64_e64 v[72:73], v[28:29], -v[32:33]
	v_fma_f64 v[74:75], v[74:75], -0.5, v[14:15]
	v_add_f64_e32 v[10:11], v[54:55], v[58:59]
	v_fma_f64 v[76:77], v[76:77], -0.5, v[16:17]
	v_fma_f64 v[78:79], v[78:79], -0.5, v[18:19]
	v_add_f64_e32 v[16:17], v[115:116], v[32:33]
	v_fma_f64 v[80:81], v[80:81], -0.5, v[20:21]
	v_add_f64_e32 v[18:19], v[117:118], v[34:35]
	;; [unrolled: 2-line block ×3, first 2 shown]
	v_add_f64_e32 v[14:15], v[113:114], v[26:27]
	v_add_f64_e32 v[20:21], v[119:120], v[40:41]
	;; [unrolled: 1-line block ×5, first 2 shown]
	v_fma_f64 v[28:29], v[109:110], s[4:5], v[4:5]
	s_wait_alu 0xfffe
	v_fma_f64 v[30:31], v[52:53], s[10:11], v[6:7]
	v_fma_f64 v[32:33], v[109:110], s[10:11], v[4:5]
	;; [unrolled: 1-line block ×19, first 2 shown]
	v_lshrrev_b32_e32 v64, 4, v91
	v_lshrrev_b32_e32 v65, 4, v97
	;; [unrolled: 1-line block ×4, first 2 shown]
	v_mul_u32_u24_e32 v68, 48, v98
	v_mul_lo_u32 v64, v64, 48
	v_mul_lo_u32 v65, v65, 48
	;; [unrolled: 1-line block ×4, first 2 shown]
	v_or_b32_e32 v68, v68, v92
	v_or_b32_e32 v64, v64, v92
	;; [unrolled: 1-line block ×5, first 2 shown]
	v_lshl_add_u32 v68, v68, 4, 0
	v_lshl_add_u32 v64, v64, 4, 0
	;; [unrolled: 1-line block ×5, first 2 shown]
	ds_store_b128 v68, v[8:11]
	ds_store_b128 v68, v[28:31] offset:256
	ds_store_b128 v68, v[32:35] offset:512
	ds_store_b128 v64, v[12:15]
	ds_store_b128 v64, v[36:39] offset:256
	ds_store_b128 v64, v[40:43] offset:512
	;; [unrolled: 3-line block ×5, first 2 shown]
	global_wb scope:SCOPE_SE
	s_wait_dscnt 0x0
	s_barrier_signal -1
	s_barrier_wait -1
	global_inv scope:SCOPE_SE
	ds_load_b128 v[32:35], v100
	ds_load_b128 v[68:71], v100 offset:3840
	ds_load_b128 v[64:67], v100 offset:7680
	;; [unrolled: 1-line block ×11, first 2 shown]
	ds_load_b128 v[28:31], v106
	ds_load_b128 v[72:75], v100 offset:24832
                                        ; implicit-def: $vgpr26_vgpr27
                                        ; implicit-def: $vgpr22_vgpr23
                                        ; implicit-def: $vgpr18_vgpr19
                                        ; implicit-def: $vgpr14_vgpr15
                                        ; implicit-def: $vgpr10_vgpr11
	s_and_saveexec_b32 s4, s1
	s_cbranch_execz .LBB0_29
; %bb.28:
	ds_load_b128 v[4:7], v105
	ds_load_b128 v[0:3], v100 offset:7424
	ds_load_b128 v[8:11], v100 offset:11264
	ds_load_b128 v[12:15], v100 offset:15104
	ds_load_b128 v[16:19], v100 offset:18944
	ds_load_b128 v[20:23], v100 offset:22784
	ds_load_b128 v[24:27], v100 offset:26624
.LBB0_29:
	s_wait_alu 0xfffe
	s_or_b32 exec_lo, exec_lo, s4
	v_and_b32_e32 v92, 0xff, v86
	v_and_b32_e32 v98, 0xff, v91
	s_mov_b32 s12, 0x37e14327
	s_mov_b32 s16, 0xe976ee23
	;; [unrolled: 1-line block ×3, first 2 shown]
	v_mul_lo_u16 v92, 0xab, v92
	v_mul_lo_u16 v98, 0xab, v98
	s_mov_b32 s17, 0x3fe11646
	s_mov_b32 s4, 0x429ad128
	s_mov_b32 s10, 0x36b3c0b5
	v_lshrrev_b16 v92, 13, v92
	s_mov_b32 s5, 0xbfebfeb5
	s_mov_b32 s11, 0x3fac98ee
	s_mov_b32 s14, 0xaaaaaaaa
	s_mov_b32 s22, 0xb247c609
	v_mul_lo_u16 v107, v92, 48
	s_mov_b32 s15, 0xbff2aaaa
	s_mov_b32 s18, 0x5476071b
	;; [unrolled: 1-line block ×4, first 2 shown]
	v_sub_nc_u16 v108, v86, v107
	v_lshrrev_b16 v107, 13, v98
	s_mov_b32 s21, 0xbfe77f67
	s_mov_b32 s25, 0x3fd5d0dc
	;; [unrolled: 1-line block ×3, first 2 shown]
	v_and_b32_e32 v98, 0xff, v108
	v_mul_lo_u16 v108, v107, 48
	s_mov_b32 s24, s22
	s_mov_b32 s26, 0x37c3f68c
	;; [unrolled: 1-line block ×3, first 2 shown]
	v_mul_u32_u24_e32 v109, 6, v98
	v_sub_nc_u16 v108, v91, v108
	v_and_b32_e32 v92, 0xffff, v92
	v_and_b32_e32 v107, 0xffff, v107
	v_lshlrev_b32_e32 v98, 4, v98
	v_lshlrev_b32_e32 v145, 4, v109
	v_and_b32_e32 v108, 0xff, v108
	v_mul_u32_u24_e32 v92, 0x1500, v92
	v_mul_u32_u24_e32 v107, 0x1500, v107
	s_clause 0x3
	global_load_b128 v[109:112], v145, s[8:9] offset:736
	global_load_b128 v[113:116], v145, s[8:9] offset:752
	;; [unrolled: 1-line block ×4, first 2 shown]
	v_mul_u32_u24_e32 v125, 6, v108
	v_lshlrev_b32_e32 v108, 4, v108
	v_add3_u32 v92, 0, v92, v98
	s_delay_alu instid0(VALU_DEP_3) | instskip(NEXT) | instid1(VALU_DEP_3)
	v_lshlrev_b32_e32 v153, 4, v125
	v_add3_u32 v98, 0, v107, v108
	s_clause 0x7
	global_load_b128 v[125:128], v153, s[8:9] offset:736
	global_load_b128 v[129:132], v153, s[8:9] offset:752
	;; [unrolled: 1-line block ×8, first 2 shown]
	global_wb scope:SCOPE_SE
	s_wait_loadcnt_dscnt 0x0
	s_barrier_signal -1
	s_barrier_wait -1
	global_inv scope:SCOPE_SE
	v_mul_f64_e32 v[159:160], v[66:67], v[115:116]
	v_mul_f64_e32 v[157:158], v[70:71], v[111:112]
	;; [unrolled: 1-line block ×20, first 2 shown]
	v_fma_f64 v[64:65], v[64:65], v[113:114], v[159:160]
	v_fma_f64 v[68:69], v[68:69], v[109:110], v[157:158]
	v_fma_f64 v[70:71], v[70:71], v[109:110], -v[111:112]
	v_fma_f64 v[66:67], v[66:67], v[113:114], -v[115:116]
	v_fma_f64 v[80:81], v[80:81], v[117:118], v[161:162]
	v_fma_f64 v[82:83], v[82:83], v[117:118], -v[119:120]
	v_fma_f64 v[76:77], v[76:77], v[121:122], v[163:164]
	v_fma_f64 v[78:79], v[78:79], v[121:122], -v[123:124]
	v_mul_f64_e32 v[109:110], v[38:39], v[151:152]
	v_mul_f64_e32 v[111:112], v[36:37], v[151:152]
	;; [unrolled: 1-line block ×4, first 2 shown]
	v_fma_f64 v[52:53], v[52:53], v[125:126], v[165:166]
	v_fma_f64 v[54:55], v[54:55], v[125:126], -v[127:128]
	v_fma_f64 v[56:57], v[56:57], v[129:130], v[167:168]
	v_fma_f64 v[58:59], v[58:59], v[129:130], -v[131:132]
	v_fma_f64 v[72:73], v[72:73], v[133:134], v[169:170]
	v_fma_f64 v[74:75], v[74:75], v[133:134], -v[135:136]
	v_fma_f64 v[60:61], v[60:61], v[137:138], v[171:172]
	v_fma_f64 v[62:63], v[62:63], v[137:138], -v[139:140]
	v_fma_f64 v[44:45], v[44:45], v[141:142], v[173:174]
	v_fma_f64 v[46:47], v[46:47], v[141:142], -v[143:144]
	v_fma_f64 v[48:49], v[48:49], v[145:146], v[175:176]
	v_fma_f64 v[50:51], v[50:51], v[145:146], -v[147:148]
	v_add_f64_e32 v[117:118], v[68:69], v[80:81]
	v_add_f64_e32 v[119:120], v[70:71], v[82:83]
	v_add_f64_e32 v[121:122], v[64:65], v[76:77]
	v_add_f64_e32 v[123:124], v[66:67], v[78:79]
	v_fma_f64 v[36:37], v[36:37], v[149:150], v[109:110]
	v_fma_f64 v[38:39], v[38:39], v[149:150], -v[111:112]
	v_fma_f64 v[40:41], v[40:41], v[153:154], v[113:114]
	v_fma_f64 v[42:43], v[42:43], v[153:154], -v[115:116]
	v_add_f64_e64 v[64:65], v[64:65], -v[76:77]
	v_add_f64_e64 v[66:67], v[66:67], -v[78:79]
	v_add_f64_e32 v[109:110], v[52:53], v[72:73]
	v_add_f64_e32 v[111:112], v[54:55], v[74:75]
	;; [unrolled: 1-line block ×4, first 2 shown]
	v_add_f64_e64 v[56:57], v[56:57], -v[60:61]
	v_add_f64_e64 v[58:59], v[58:59], -v[62:63]
	v_add_f64_e32 v[125:126], v[44:45], v[48:49]
	v_add_f64_e32 v[127:128], v[46:47], v[50:51]
	v_add_f64_e64 v[44:45], v[48:49], -v[44:45]
	v_add_f64_e64 v[46:47], v[50:51], -v[46:47]
	;; [unrolled: 1-line block ×4, first 2 shown]
	v_add_f64_e32 v[68:69], v[121:122], v[117:118]
	v_add_f64_e32 v[70:71], v[123:124], v[119:120]
	;; [unrolled: 1-line block ×4, first 2 shown]
	v_add_f64_e64 v[36:37], v[40:41], -v[36:37]
	v_add_f64_e64 v[38:39], v[42:43], -v[38:39]
	v_add_f64_e64 v[40:41], v[52:53], -v[72:73]
	v_add_f64_e64 v[42:43], v[54:55], -v[74:75]
	v_add_f64_e32 v[52:53], v[113:114], v[109:110]
	v_add_f64_e32 v[54:55], v[115:116], v[111:112]
	v_add_f64_e64 v[72:73], v[117:118], -v[125:126]
	v_add_f64_e64 v[74:75], v[119:120], -v[127:128]
	;; [unrolled: 1-line block ×8, first 2 shown]
	v_add_f64_e32 v[64:65], v[44:45], v[64:65]
	v_add_f64_e32 v[66:67], v[46:47], v[66:67]
	v_add_f64_e64 v[44:45], v[48:49], -v[44:45]
	v_add_f64_e64 v[46:47], v[50:51], -v[46:47]
	;; [unrolled: 1-line block ×4, first 2 shown]
	v_add_f64_e32 v[68:69], v[125:126], v[68:69]
	v_add_f64_e32 v[70:71], v[127:128], v[70:71]
	v_add_f64_e64 v[125:126], v[109:110], -v[60:61]
	v_add_f64_e64 v[127:128], v[111:112], -v[62:63]
	;; [unrolled: 1-line block ×6, first 2 shown]
	v_add_f64_e32 v[56:57], v[36:37], v[56:57]
	v_add_f64_e32 v[58:59], v[38:39], v[58:59]
	;; [unrolled: 1-line block ×4, first 2 shown]
	v_add_f64_e64 v[60:61], v[60:61], -v[113:114]
	v_add_f64_e64 v[62:63], v[62:63], -v[115:116]
	v_mul_f64_e32 v[72:73], s[12:13], v[72:73]
	v_mul_f64_e32 v[74:75], s[12:13], v[74:75]
	;; [unrolled: 1-line block ×4, first 2 shown]
	s_wait_alu 0xfffe
	v_mul_f64_e32 v[141:142], s[4:5], v[129:130]
	v_mul_f64_e32 v[143:144], s[4:5], v[131:132]
	;; [unrolled: 1-line block ×4, first 2 shown]
	v_add_f64_e64 v[36:37], v[40:41], -v[36:37]
	v_add_f64_e64 v[38:39], v[42:43], -v[38:39]
	v_add_f64_e64 v[109:110], v[113:114], -v[109:110]
	v_add_f64_e64 v[111:112], v[115:116], -v[111:112]
	v_add_f64_e32 v[48:49], v[64:65], v[48:49]
	v_add_f64_e32 v[50:51], v[66:67], v[50:51]
	;; [unrolled: 1-line block ×4, first 2 shown]
	v_mul_f64_e32 v[125:126], s[12:13], v[125:126]
	v_mul_f64_e32 v[127:128], s[12:13], v[127:128]
	;; [unrolled: 1-line block ×6, first 2 shown]
	v_add_f64_e32 v[40:41], v[56:57], v[40:41]
	v_add_f64_e32 v[42:43], v[58:59], v[42:43]
	v_add_f64_e32 v[28:29], v[28:29], v[52:53]
	v_add_f64_e32 v[30:31], v[30:31], v[54:55]
	v_mul_f64_e32 v[113:114], s[10:11], v[60:61]
	v_mul_f64_e32 v[115:116], s[10:11], v[62:63]
	v_fma_f64 v[56:57], v[76:77], s[10:11], v[72:73]
	v_fma_f64 v[58:59], v[78:79], s[10:11], v[74:75]
	;; [unrolled: 1-line block ×4, first 2 shown]
	v_fma_f64 v[44:45], v[44:45], s[24:25], -v[141:142]
	v_fma_f64 v[46:47], v[46:47], s[24:25], -v[143:144]
	;; [unrolled: 1-line block ×8, first 2 shown]
	v_fma_f64 v[68:69], v[68:69], s[14:15], v[32:33]
	v_fma_f64 v[70:71], v[70:71], s[14:15], v[34:35]
	v_fma_f64 v[60:61], v[60:61], s[10:11], v[125:126]
	v_fma_f64 v[62:63], v[62:63], s[10:11], v[127:128]
	v_fma_f64 v[117:118], v[36:37], s[22:23], v[133:134]
	v_fma_f64 v[119:120], v[38:39], s[22:23], v[135:136]
	v_fma_f64 v[36:37], v[36:37], s[24:25], -v[145:146]
	v_fma_f64 v[38:39], v[38:39], s[24:25], -v[147:148]
	;; [unrolled: 1-line block ×4, first 2 shown]
	v_fma_f64 v[52:53], v[52:53], s[14:15], v[28:29]
	v_fma_f64 v[54:55], v[54:55], s[14:15], v[30:31]
	v_fma_f64 v[121:122], v[137:138], s[4:5], -v[133:134]
	v_fma_f64 v[123:124], v[139:140], s[4:5], -v[135:136]
	;; [unrolled: 1-line block ×4, first 2 shown]
	v_fma_f64 v[76:77], v[48:49], s[26:27], v[76:77]
	v_fma_f64 v[78:79], v[50:51], s[26:27], v[78:79]
	;; [unrolled: 1-line block ×6, first 2 shown]
	v_add_f64_e32 v[56:57], v[56:57], v[68:69]
	v_add_f64_e32 v[58:59], v[58:59], v[70:71]
	;; [unrolled: 1-line block ×6, first 2 shown]
	v_fma_f64 v[117:118], v[40:41], s[26:27], v[117:118]
	v_fma_f64 v[119:120], v[42:43], s[26:27], v[119:120]
	v_fma_f64 v[129:130], v[40:41], s[26:27], v[36:37]
	v_fma_f64 v[131:132], v[42:43], s[26:27], v[38:39]
	v_add_f64_e32 v[133:134], v[60:61], v[52:53]
	v_add_f64_e32 v[135:136], v[62:63], v[54:55]
	;; [unrolled: 1-line block ×4, first 2 shown]
	v_fma_f64 v[121:122], v[40:41], s[26:27], v[121:122]
	v_fma_f64 v[123:124], v[42:43], s[26:27], v[123:124]
	v_add_f64_e32 v[109:110], v[109:110], v[52:53]
	v_add_f64_e32 v[111:112], v[111:112], v[54:55]
	;; [unrolled: 1-line block ×3, first 2 shown]
	v_add_f64_e64 v[38:39], v[58:59], -v[76:77]
	v_add_f64_e32 v[40:41], v[115:116], v[72:73]
	v_add_f64_e64 v[42:43], v[74:75], -v[113:114]
	v_add_f64_e64 v[44:45], v[48:49], -v[82:83]
	v_add_f64_e32 v[46:47], v[80:81], v[50:51]
	v_add_f64_e32 v[48:49], v[82:83], v[48:49]
	v_add_f64_e64 v[50:51], v[50:51], -v[80:81]
	v_add_f64_e64 v[52:53], v[72:73], -v[115:116]
	v_add_f64_e32 v[54:55], v[113:114], v[74:75]
	v_add_f64_e64 v[56:57], v[56:57], -v[78:79]
	v_add_f64_e32 v[58:59], v[76:77], v[58:59]
	v_add_f64_e32 v[60:61], v[119:120], v[133:134]
	v_add_f64_e64 v[62:63], v[135:136], -v[117:118]
	v_add_f64_e32 v[64:65], v[131:132], v[125:126]
	v_add_f64_e64 v[66:67], v[127:128], -v[129:130]
	v_add_f64_e64 v[76:77], v[125:126], -v[131:132]
	v_add_f64_e32 v[78:79], v[129:130], v[127:128]
	v_add_f64_e64 v[68:69], v[109:110], -v[123:124]
	v_add_f64_e32 v[70:71], v[121:122], v[111:112]
	v_add_f64_e32 v[72:73], v[123:124], v[109:110]
	v_add_f64_e64 v[74:75], v[111:112], -v[121:122]
	v_add_f64_e64 v[80:81], v[133:134], -v[119:120]
	v_add_f64_e32 v[82:83], v[117:118], v[135:136]
	ds_store_b128 v92, v[32:35]
	ds_store_b128 v92, v[36:39] offset:768
	ds_store_b128 v92, v[40:43] offset:1536
	;; [unrolled: 1-line block ×6, first 2 shown]
	ds_store_b128 v98, v[28:31]
	ds_store_b128 v98, v[60:63] offset:768
	ds_store_b128 v98, v[64:67] offset:1536
	ds_store_b128 v98, v[68:71] offset:2304
	ds_store_b128 v98, v[72:75] offset:3072
	ds_store_b128 v98, v[76:79] offset:3840
	ds_store_b128 v98, v[80:83] offset:4608
	s_and_saveexec_b32 s28, s1
	s_cbranch_execz .LBB0_31
; %bb.30:
	v_and_b32_e32 v28, 0xffff, v97
	s_delay_alu instid0(VALU_DEP_1) | instskip(NEXT) | instid1(VALU_DEP_1)
	v_mul_u32_u24_e32 v28, 0xaaab, v28
	v_lshrrev_b32_e32 v28, 21, v28
	s_delay_alu instid0(VALU_DEP_1) | instskip(NEXT) | instid1(VALU_DEP_1)
	v_mul_lo_u16 v28, v28, 48
	v_sub_nc_u16 v28, v97, v28
	s_delay_alu instid0(VALU_DEP_1) | instskip(NEXT) | instid1(VALU_DEP_1)
	v_and_b32_e32 v64, 0xffff, v28
	v_mul_u32_u24_e32 v28, 6, v64
	s_delay_alu instid0(VALU_DEP_1)
	v_lshlrev_b32_e32 v48, 4, v28
	s_clause 0x5
	global_load_b128 v[28:31], v48, s[8:9] offset:752
	global_load_b128 v[32:35], v48, s[8:9] offset:800
	;; [unrolled: 1-line block ×6, first 2 shown]
	s_wait_loadcnt 0x5
	v_mul_f64_e32 v[52:53], v[8:9], v[30:31]
	s_wait_loadcnt 0x4
	v_mul_f64_e32 v[54:55], v[20:21], v[34:35]
	;; [unrolled: 2-line block ×4, first 2 shown]
	v_mul_f64_e32 v[30:31], v[10:11], v[30:31]
	v_mul_f64_e32 v[34:35], v[22:23], v[34:35]
	;; [unrolled: 1-line block ×4, first 2 shown]
	s_wait_loadcnt 0x1
	v_mul_f64_e32 v[60:61], v[18:19], v[46:47]
	s_wait_loadcnt 0x0
	v_mul_f64_e32 v[62:63], v[14:15], v[50:51]
	v_mul_f64_e32 v[50:51], v[12:13], v[50:51]
	;; [unrolled: 1-line block ×3, first 2 shown]
	v_fma_f64 v[10:11], v[10:11], v[28:29], -v[52:53]
	v_fma_f64 v[22:23], v[22:23], v[32:33], -v[54:55]
	;; [unrolled: 1-line block ×4, first 2 shown]
	v_fma_f64 v[8:9], v[8:9], v[28:29], v[30:31]
	v_fma_f64 v[20:21], v[20:21], v[32:33], v[34:35]
	;; [unrolled: 1-line block ×6, first 2 shown]
	v_fma_f64 v[14:15], v[14:15], v[48:49], -v[50:51]
	v_fma_f64 v[18:19], v[18:19], v[44:45], -v[46:47]
	v_add_f64_e32 v[28:29], v[10:11], v[22:23]
	v_add_f64_e64 v[10:11], v[10:11], -v[22:23]
	v_add_f64_e32 v[30:31], v[2:3], v[26:27]
	v_add_f64_e32 v[32:33], v[8:9], v[20:21]
	v_add_f64_e64 v[8:9], v[8:9], -v[20:21]
	v_add_f64_e32 v[34:35], v[0:1], v[24:25]
	v_add_f64_e64 v[36:37], v[16:17], -v[12:13]
	v_add_f64_e32 v[12:13], v[12:13], v[16:17]
	v_add_f64_e32 v[20:21], v[14:15], v[18:19]
	v_add_f64_e64 v[16:17], v[0:1], -v[24:25]
	v_add_f64_e64 v[14:15], v[18:19], -v[14:15]
	;; [unrolled: 1-line block ×3, first 2 shown]
	v_add_f64_e32 v[0:1], v[28:29], v[30:31]
	v_add_f64_e32 v[2:3], v[32:33], v[34:35]
	v_add_f64_e64 v[22:23], v[36:37], -v[8:9]
	v_add_f64_e64 v[26:27], v[34:35], -v[12:13]
	;; [unrolled: 1-line block ×4, first 2 shown]
	v_add_f64_e32 v[8:9], v[36:37], v[8:9]
	v_add_f64_e64 v[42:43], v[10:11], -v[18:19]
	v_add_f64_e64 v[36:37], v[16:17], -v[36:37]
	v_add_f64_e32 v[40:41], v[20:21], v[0:1]
	v_add_f64_e64 v[20:21], v[20:21], -v[28:29]
	v_add_f64_e64 v[0:1], v[14:15], -v[10:11]
	v_add_f64_e32 v[10:11], v[14:15], v[10:11]
	v_add_f64_e32 v[44:45], v[12:13], v[2:3]
	v_add_f64_e64 v[12:13], v[12:13], -v[32:33]
	v_mul_f64_e32 v[22:23], s[16:17], v[22:23]
	v_mul_f64_e32 v[26:27], s[12:13], v[26:27]
	;; [unrolled: 1-line block ×4, first 2 shown]
	v_add_f64_e64 v[14:15], v[18:19], -v[14:15]
	v_mul_f64_e32 v[48:49], s[4:5], v[42:43]
	v_add_f64_e32 v[8:9], v[8:9], v[16:17]
	v_add_f64_e32 v[2:3], v[6:7], v[40:41]
	v_add_f64_e64 v[6:7], v[28:29], -v[30:31]
	v_mul_f64_e32 v[28:29], s[10:11], v[20:21]
	v_mul_f64_e32 v[30:31], s[16:17], v[0:1]
	v_add_f64_e32 v[0:1], v[4:5], v[44:45]
	v_add_f64_e64 v[4:5], v[32:33], -v[34:35]
	v_mul_f64_e32 v[32:33], s[10:11], v[12:13]
	v_add_f64_e32 v[10:11], v[10:11], v[18:19]
	v_fma_f64 v[16:17], v[36:37], s[22:23], v[22:23]
	v_fma_f64 v[18:19], v[20:21], s[10:11], v[24:25]
	;; [unrolled: 1-line block ×3, first 2 shown]
	v_fma_f64 v[20:21], v[36:37], s[24:25], -v[46:47]
	v_fma_f64 v[22:23], v[38:39], s[4:5], -v[22:23]
	v_fma_f64 v[34:35], v[40:41], s[14:15], v[2:3]
	v_fma_f64 v[24:25], v[6:7], s[20:21], -v[24:25]
	v_fma_f64 v[6:7], v[6:7], s[18:19], -v[28:29]
	v_fma_f64 v[28:29], v[14:15], s[22:23], v[30:31]
	v_fma_f64 v[36:37], v[44:45], s[14:15], v[0:1]
	v_fma_f64 v[14:15], v[14:15], s[24:25], -v[48:49]
	v_fma_f64 v[26:27], v[4:5], s[20:21], -v[26:27]
	;; [unrolled: 1-line block ×4, first 2 shown]
	v_fma_f64 v[16:17], v[8:9], s[26:27], v[16:17]
	v_fma_f64 v[20:21], v[8:9], s[26:27], v[20:21]
	;; [unrolled: 1-line block ×3, first 2 shown]
	v_add_f64_e32 v[32:33], v[18:19], v[34:35]
	v_add_f64_e32 v[22:23], v[24:25], v[34:35]
	;; [unrolled: 1-line block ×3, first 2 shown]
	v_fma_f64 v[28:29], v[10:11], s[26:27], v[28:29]
	v_add_f64_e32 v[38:39], v[12:13], v[36:37]
	v_fma_f64 v[34:35], v[10:11], s[26:27], v[14:15]
	v_add_f64_e32 v[40:41], v[26:27], v[36:37]
	;; [unrolled: 2-line block ×3, first 2 shown]
	v_add_f64_e64 v[26:27], v[32:33], -v[16:17]
	v_add_f64_e32 v[10:11], v[20:21], v[22:23]
	v_add_f64_e64 v[22:23], v[22:23], -v[20:21]
	v_add_f64_e32 v[6:7], v[16:17], v[32:33]
	v_add_f64_e32 v[24:25], v[28:29], v[38:39]
	v_add_f64_e64 v[14:15], v[18:19], -v[8:9]
	v_add_f64_e32 v[20:21], v[34:35], v[40:41]
	;; [unrolled: 3-line block ×3, first 2 shown]
	v_add_f64_e64 v[8:9], v[40:41], -v[34:35]
	v_add_f64_e64 v[4:5], v[38:39], -v[28:29]
	v_lshl_add_u32 v28, v64, 4, 0
	ds_store_b128 v28, v[0:3] offset:21504
	ds_store_b128 v28, v[24:27] offset:22272
	;; [unrolled: 1-line block ×7, first 2 shown]
.LBB0_31:
	s_wait_alu 0xfffe
	s_or_b32 exec_lo, exec_lo, s28
	v_dual_mov_b32 v1, 0 :: v_dual_lshlrev_b32 v0, 2, v86
	global_wb scope:SCOPE_SE
	s_wait_dscnt 0x0
	s_barrier_signal -1
	s_barrier_wait -1
	global_inv scope:SCOPE_SE
	v_lshlrev_b64_e32 v[2:3], 4, v[0:1]
	v_lshlrev_b32_e32 v0, 2, v91
	s_mov_b32 s12, 0x134454ff
	s_mov_b32 s13, 0xbfee6f0e
	;; [unrolled: 1-line block ×3, first 2 shown]
	s_wait_alu 0xfffe
	s_mov_b32 s14, s12
	v_lshlrev_b64_e32 v[6:7], 4, v[0:1]
	v_add_co_u32 v14, s1, s8, v2
	v_lshlrev_b32_e32 v0, 2, v97
	s_wait_alu 0xf1ff
	v_add_co_ci_u32_e64 v15, s1, s9, v3, s1
	s_delay_alu instid0(VALU_DEP_4) | instskip(NEXT) | instid1(VALU_DEP_3)
	v_add_co_u32 v30, s1, s8, v6
	v_lshlrev_b64_e32 v[32:33], 4, v[0:1]
	global_load_b128 v[2:5], v[14:15], off offset:5344
	s_wait_alu 0xf1ff
	v_add_co_ci_u32_e64 v31, s1, s9, v7, s1
	s_clause 0x5
	global_load_b128 v[6:9], v[14:15], off offset:5360
	global_load_b128 v[10:13], v[14:15], off offset:5376
	;; [unrolled: 1-line block ×6, first 2 shown]
	v_add_co_u32 v46, s1, s8, v32
	s_wait_alu 0xf1ff
	v_add_co_ci_u32_e64 v47, s1, s9, v33, s1
	s_clause 0x4
	global_load_b128 v[30:33], v[30:31], off offset:5392
	global_load_b128 v[34:37], v[46:47], off offset:5344
	;; [unrolled: 1-line block ×5, first 2 shown]
	ds_load_b128 v[50:53], v104
	ds_load_b128 v[54:57], v101
	ds_load_b128 v[58:61], v100 offset:16128
	ds_load_b128 v[62:65], v100 offset:21504
	;; [unrolled: 1-line block ×6, first 2 shown]
	ds_load_b128 v[107:110], v105
	ds_load_b128 v[111:114], v100 offset:8960
	ds_load_b128 v[115:118], v100 offset:14336
	;; [unrolled: 1-line block ×4, first 2 shown]
	s_mov_b32 s4, 0x4755a5e
	s_mov_b32 s5, 0xbfe2cf23
	;; [unrolled: 1-line block ×3, first 2 shown]
	s_wait_alu 0xfffe
	s_mov_b32 s10, s4
	s_wait_loadcnt_dscnt 0xb0c
	v_mul_f64_e32 v[82:83], v[52:53], v[4:5]
	v_mul_f64_e32 v[4:5], v[50:51], v[4:5]
	s_wait_loadcnt_dscnt 0xa0b
	v_mul_f64_e32 v[127:128], v[56:57], v[8:9]
	s_wait_loadcnt_dscnt 0x90a
	v_mul_f64_e32 v[129:130], v[60:61], v[12:13]
	v_mul_f64_e32 v[8:9], v[54:55], v[8:9]
	;; [unrolled: 1-line block ×3, first 2 shown]
	s_wait_loadcnt_dscnt 0x809
	v_mul_f64_e32 v[131:132], v[64:65], v[16:17]
	v_mul_f64_e32 v[16:17], v[62:63], v[16:17]
	s_wait_loadcnt_dscnt 0x607
	v_mul_f64_e32 v[135:136], v[72:73], v[24:25]
	s_wait_dscnt 0x6
	v_mul_f64_e32 v[137:138], v[76:77], v[20:21]
	v_mul_f64_e32 v[24:25], v[70:71], v[24:25]
	;; [unrolled: 1-line block ×3, first 2 shown]
	s_wait_loadcnt 0x5
	v_mul_f64_e32 v[133:134], v[68:69], v[28:29]
	v_mul_f64_e32 v[28:29], v[66:67], v[28:29]
	s_wait_loadcnt_dscnt 0x405
	v_mul_f64_e32 v[139:140], v[80:81], v[32:33]
	v_mul_f64_e32 v[32:33], v[78:79], v[32:33]
	s_wait_loadcnt_dscnt 0x202
	v_mul_f64_e32 v[143:144], v[117:118], v[40:41]
	s_wait_loadcnt_dscnt 0x101
	v_mul_f64_e32 v[145:146], v[121:122], v[44:45]
	v_mul_f64_e32 v[40:41], v[115:116], v[40:41]
	;; [unrolled: 1-line block ×5, first 2 shown]
	s_wait_loadcnt_dscnt 0x0
	v_mul_f64_e32 v[147:148], v[125:126], v[48:49]
	v_mul_f64_e32 v[48:49], v[123:124], v[48:49]
	v_fma_f64 v[50:51], v[50:51], v[2:3], v[82:83]
	v_fma_f64 v[52:53], v[52:53], v[2:3], -v[4:5]
	v_fma_f64 v[54:55], v[54:55], v[6:7], v[127:128]
	v_fma_f64 v[58:59], v[58:59], v[10:11], v[129:130]
	v_fma_f64 v[56:57], v[56:57], v[6:7], -v[8:9]
	v_fma_f64 v[10:11], v[60:61], v[10:11], -v[12:13]
	v_fma_f64 v[62:63], v[62:63], v[14:15], v[131:132]
	v_fma_f64 v[14:15], v[64:65], v[14:15], -v[16:17]
	v_fma_f64 v[16:17], v[70:71], v[22:23], v[135:136]
	v_fma_f64 v[60:61], v[74:75], v[18:19], v[137:138]
	v_fma_f64 v[22:23], v[72:73], v[22:23], -v[24:25]
	v_fma_f64 v[18:19], v[76:77], v[18:19], -v[20:21]
	v_fma_f64 v[12:13], v[66:67], v[26:27], v[133:134]
	v_fma_f64 v[26:27], v[68:69], v[26:27], -v[28:29]
	v_fma_f64 v[28:29], v[78:79], v[30:31], v[139:140]
	;; [unrolled: 2-line block ×3, first 2 shown]
	v_fma_f64 v[32:33], v[119:120], v[42:43], v[145:146]
	v_fma_f64 v[38:39], v[117:118], v[38:39], -v[40:41]
	v_fma_f64 v[40:41], v[121:122], v[42:43], -v[44:45]
	v_fma_f64 v[24:25], v[111:112], v[34:35], v[141:142]
	v_fma_f64 v[34:35], v[113:114], v[34:35], -v[36:37]
	v_fma_f64 v[36:37], v[123:124], v[46:47], v[147:148]
	v_fma_f64 v[42:43], v[125:126], v[46:47], -v[48:49]
	ds_load_b128 v[2:5], v100
	ds_load_b128 v[6:9], v106
	global_wb scope:SCOPE_SE
	s_wait_dscnt 0x0
	s_barrier_signal -1
	s_barrier_wait -1
	global_inv scope:SCOPE_SE
	v_add_f64_e64 v[72:73], v[50:51], -v[54:55]
	v_add_f64_e32 v[44:45], v[54:55], v[58:59]
	v_add_f64_e64 v[80:81], v[54:55], -v[50:51]
	v_add_f64_e32 v[66:67], v[56:57], v[10:11]
	v_add_f64_e32 v[48:49], v[50:51], v[62:63]
	;; [unrolled: 1-line block ×7, first 2 shown]
	v_add_f64_e64 v[64:65], v[52:53], -v[14:15]
	v_add_f64_e64 v[76:77], v[62:63], -v[58:59]
	v_add_f64_e32 v[78:79], v[12:13], v[28:29]
	v_add_f64_e32 v[113:114], v[26:27], v[20:21]
	v_add_f64_e64 v[111:112], v[58:59], -v[62:63]
	v_add_f64_e32 v[117:118], v[30:31], v[32:33]
	v_add_f64_e64 v[50:51], v[50:51], -v[62:63]
	v_add_f64_e32 v[123:124], v[38:39], v[40:41]
	v_add_f64_e32 v[133:134], v[6:7], v[12:13]
	;; [unrolled: 1-line block ×7, first 2 shown]
	v_add_f64_e64 v[68:69], v[56:57], -v[10:11]
	v_add_f64_e64 v[121:122], v[54:55], -v[58:59]
	;; [unrolled: 1-line block ×15, first 2 shown]
	v_fma_f64 v[44:45], v[44:45], -0.5, v[2:3]
	v_add_f64_e64 v[24:25], v[30:31], -v[24:25]
	v_fma_f64 v[66:67], v[66:67], -0.5, v[4:5]
	v_fma_f64 v[2:3], v[48:49], -0.5, v[2:3]
	;; [unrolled: 1-line block ×3, first 2 shown]
	v_add_f64_e32 v[46:47], v[46:47], v[54:55]
	v_fma_f64 v[74:75], v[74:75], -0.5, v[6:7]
	v_add_f64_e32 v[56:57], v[115:116], v[56:57]
	v_fma_f64 v[82:83], v[82:83], -0.5, v[8:9]
	v_add_f64_e64 v[155:156], v[26:27], -v[22:23]
	v_add_f64_e64 v[26:27], v[22:23], -v[26:27]
	v_fma_f64 v[6:7], v[78:79], -0.5, v[6:7]
	v_fma_f64 v[8:9], v[113:114], -0.5, v[8:9]
	v_add_f64_e64 v[78:79], v[38:39], -v[40:41]
	v_fma_f64 v[117:118], v[117:118], -0.5, v[107:108]
	v_add_f64_e64 v[70:71], v[18:19], -v[20:21]
	;; [unrolled: 2-line block ×3, first 2 shown]
	v_add_f64_e64 v[34:35], v[38:39], -v[34:35]
	v_fma_f64 v[107:108], v[119:120], -0.5, v[107:108]
	v_add_f64_e64 v[119:120], v[30:31], -v[32:33]
	v_fma_f64 v[109:110], v[125:126], -0.5, v[109:110]
	v_add_f64_e64 v[125:126], v[32:33], -v[36:37]
	v_add_f64_e32 v[54:55], v[72:73], v[76:77]
	v_add_f64_e32 v[72:73], v[80:81], v[111:112]
	;; [unrolled: 1-line block ×6, first 2 shown]
	v_add_f64_e64 v[141:142], v[28:29], -v[60:61]
	v_add_f64_e64 v[145:146], v[60:61], -v[28:29]
	;; [unrolled: 1-line block ×3, first 2 shown]
	v_add_f64_e32 v[76:77], v[127:128], v[129:130]
	v_add_f64_e64 v[48:49], v[20:21], -v[18:19]
	v_add_f64_e32 v[52:53], v[52:53], v[131:132]
	v_add_f64_e64 v[113:114], v[36:37], -v[32:33]
	v_add_f64_e64 v[165:166], v[42:43], -v[40:41]
	v_fma_f64 v[80:81], v[64:65], s[12:13], v[44:45]
	v_fma_f64 v[44:45], v[64:65], s[14:15], v[44:45]
	;; [unrolled: 1-line block ×24, first 2 shown]
	v_add_f64_e32 v[125:126], v[24:25], v[125:126]
	v_add_f64_e32 v[24:25], v[46:47], v[58:59]
	;; [unrolled: 1-line block ×14, first 2 shown]
	v_fma_f64 v[30:31], v[68:69], s[4:5], v[80:81]
	s_wait_alu 0xfffe
	v_fma_f64 v[32:33], v[68:69], s[10:11], v[44:45]
	v_fma_f64 v[40:41], v[121:122], s[10:11], v[115:116]
	;; [unrolled: 1-line block ×23, first 2 shown]
	s_mov_b32 s4, 0x372fe950
	s_mov_b32 s5, 0x3fd3c6ef
	v_add_f64_e32 v[2:3], v[24:25], v[62:63]
	v_add_f64_e32 v[4:5], v[10:11], v[14:15]
	;; [unrolled: 1-line block ×6, first 2 shown]
	s_wait_alu 0xfffe
	v_fma_f64 v[14:15], v[54:55], s[4:5], v[30:31]
	v_fma_f64 v[18:19], v[54:55], s[4:5], v[32:33]
	v_fma_f64 v[16:17], v[76:77], s[4:5], v[40:41]
	v_fma_f64 v[22:23], v[72:73], s[4:5], v[34:35]
	v_fma_f64 v[24:25], v[52:53], s[4:5], v[46:47]
	v_fma_f64 v[26:27], v[72:73], s[4:5], v[38:39]
	v_fma_f64 v[28:29], v[52:53], s[4:5], v[50:51]
	v_fma_f64 v[20:21], v[76:77], s[4:5], v[44:45]
	v_fma_f64 v[30:31], v[139:140], s[4:5], v[56:57]
	v_fma_f64 v[32:33], v[48:49], s[4:5], v[66:67]
	v_fma_f64 v[34:35], v[139:140], s[4:5], v[58:59]
	v_fma_f64 v[38:39], v[141:142], s[4:5], v[60:61]
	v_fma_f64 v[40:41], v[70:71], s[4:5], v[74:75]
	v_fma_f64 v[42:43], v[141:142], s[4:5], v[64:65]
	v_fma_f64 v[44:45], v[70:71], s[4:5], v[80:81]
	v_fma_f64 v[36:37], v[48:49], s[4:5], v[68:69]
	v_fma_f64 v[46:47], v[113:114], s[4:5], v[82:83]
	v_fma_f64 v[48:49], v[143:144], s[4:5], v[115:116]
	v_fma_f64 v[50:51], v[113:114], s[4:5], v[78:79]
	v_fma_f64 v[54:55], v[125:126], s[4:5], v[111:112]
	v_fma_f64 v[58:59], v[125:126], s[4:5], v[107:108]
	v_fma_f64 v[56:57], v[145:146], s[4:5], v[117:118]
	v_fma_f64 v[60:61], v[145:146], s[4:5], v[109:110]
	v_fma_f64 v[52:53], v[143:144], s[4:5], v[119:120]
	s_mov_b32 s4, exec_lo
	ds_store_b128 v100, v[2:5]
	ds_store_b128 v100, v[14:17] offset:5376
	ds_store_b128 v100, v[22:25] offset:10752
	ds_store_b128 v100, v[26:29] offset:16128
	ds_store_b128 v100, v[18:21] offset:21504
	ds_store_b128 v106, v[6:9]
	ds_store_b128 v106, v[30:33] offset:5376
	ds_store_b128 v106, v[38:41] offset:10752
	ds_store_b128 v106, v[42:45] offset:16128
	ds_store_b128 v106, v[34:37] offset:21504
	;; [unrolled: 5-line block ×3, first 2 shown]
	global_wb scope:SCOPE_SE
	s_wait_dscnt 0x0
	s_barrier_signal -1
	s_barrier_wait -1
	global_inv scope:SCOPE_SE
	ds_load_b128 v[4:7], v100
	v_sub_nc_u32_e32 v10, 0, v87
                                        ; implicit-def: $vgpr2_vgpr3
                                        ; implicit-def: $vgpr8_vgpr9
	v_cmpx_ne_u32_e32 0, v86
	s_wait_alu 0xfffe
	s_xor_b32 s4, exec_lo, s4
	s_cbranch_execz .LBB0_33
; %bb.32:
	v_mov_b32_e32 v87, v1
	s_delay_alu instid0(VALU_DEP_1) | instskip(NEXT) | instid1(VALU_DEP_1)
	v_lshlrev_b64_e32 v[0:1], 4, v[86:87]
	v_add_co_u32 v0, s1, s8, v0
	s_wait_alu 0xf1ff
	s_delay_alu instid0(VALU_DEP_2)
	v_add_co_ci_u32_e64 v1, s1, s9, v1, s1
	global_load_b128 v[11:14], v[0:1], off offset:26848
	ds_load_b128 v[0:3], v10 offset:26880
	s_wait_dscnt 0x0
	v_add_f64_e64 v[8:9], v[4:5], -v[0:1]
	v_add_f64_e32 v[15:16], v[6:7], v[2:3]
	v_add_f64_e64 v[2:3], v[6:7], -v[2:3]
	v_add_f64_e32 v[0:1], v[4:5], v[0:1]
	s_delay_alu instid0(VALU_DEP_4) | instskip(NEXT) | instid1(VALU_DEP_4)
	v_mul_f64_e32 v[6:7], 0.5, v[8:9]
	v_mul_f64_e32 v[4:5], 0.5, v[15:16]
	s_delay_alu instid0(VALU_DEP_4) | instskip(SKIP_1) | instid1(VALU_DEP_3)
	v_mul_f64_e32 v[2:3], 0.5, v[2:3]
	s_wait_loadcnt 0x0
	v_mul_f64_e32 v[8:9], v[6:7], v[13:14]
	s_delay_alu instid0(VALU_DEP_2) | instskip(SKIP_1) | instid1(VALU_DEP_3)
	v_fma_f64 v[15:16], v[4:5], v[13:14], v[2:3]
	v_fma_f64 v[2:3], v[4:5], v[13:14], -v[2:3]
	v_fma_f64 v[17:18], v[0:1], 0.5, v[8:9]
	v_fma_f64 v[0:1], v[0:1], 0.5, -v[8:9]
	s_delay_alu instid0(VALU_DEP_4) | instskip(NEXT) | instid1(VALU_DEP_4)
	v_fma_f64 v[8:9], -v[11:12], v[6:7], v[15:16]
	v_fma_f64 v[2:3], -v[11:12], v[6:7], v[2:3]
	s_delay_alu instid0(VALU_DEP_4) | instskip(NEXT) | instid1(VALU_DEP_4)
	v_fma_f64 v[13:14], v[4:5], v[11:12], v[17:18]
	v_fma_f64 v[0:1], -v[4:5], v[11:12], v[0:1]
                                        ; implicit-def: $vgpr4_vgpr5
	ds_store_b64 v100, v[13:14]
.LBB0_33:
	s_wait_alu 0xfffe
	s_and_not1_saveexec_b32 s1, s4
	s_cbranch_execz .LBB0_35
; %bb.34:
	s_wait_dscnt 0x0
	v_add_f64_e32 v[11:12], v[4:5], v[6:7]
	v_add_f64_e64 v[0:1], v[4:5], -v[6:7]
	v_mov_b32_e32 v6, 0
	v_mov_b32_e32 v8, 0
	;; [unrolled: 1-line block ×3, first 2 shown]
	s_delay_alu instid0(VALU_DEP_2)
	v_mov_b32_e32 v2, v8
	ds_load_b64 v[4:5], v6 offset:13448
	v_mov_b32_e32 v3, v9
	s_wait_dscnt 0x0
	v_xor_b32_e32 v5, 0x80000000, v5
	ds_store_b64 v100, v[11:12]
	ds_store_b64 v6, v[4:5] offset:13448
.LBB0_35:
	s_wait_alu 0xfffe
	s_or_b32 exec_lo, exec_lo, s1
	v_mov_b32_e32 v92, 0
	s_wait_dscnt 0x0
	s_delay_alu instid0(VALU_DEP_1) | instskip(SKIP_1) | instid1(VALU_DEP_1)
	v_lshlrev_b64_e32 v[4:5], 4, v[91:92]
	v_mov_b32_e32 v98, v92
	v_lshlrev_b64_e32 v[11:12], 4, v[97:98]
	v_mov_b32_e32 v97, v92
	s_delay_alu instid0(VALU_DEP_4) | instskip(SKIP_2) | instid1(VALU_DEP_4)
	v_add_co_u32 v4, s1, s8, v4
	s_wait_alu 0xf1ff
	v_add_co_ci_u32_e64 v5, s1, s9, v5, s1
	v_add_co_u32 v11, s1, s8, v11
	s_wait_alu 0xf1ff
	v_add_co_ci_u32_e64 v12, s1, s9, v12, s1
	s_clause 0x1
	global_load_b128 v[4:7], v[4:5], off offset:26848
	global_load_b128 v[11:14], v[11:12], off offset:26848
	ds_store_b64 v100, v[8:9] offset:8
	ds_store_b128 v10, v[0:3] offset:26880
	ds_load_b128 v[0:3], v106
	ds_load_b128 v[15:18], v10 offset:25088
	s_wait_dscnt 0x0
	v_add_f64_e64 v[8:9], v[0:1], -v[15:16]
	v_add_f64_e32 v[19:20], v[2:3], v[17:18]
	v_add_f64_e64 v[2:3], v[2:3], -v[17:18]
	v_add_f64_e32 v[0:1], v[0:1], v[15:16]
	s_delay_alu instid0(VALU_DEP_4) | instskip(NEXT) | instid1(VALU_DEP_4)
	v_mul_f64_e32 v[8:9], 0.5, v[8:9]
	v_mul_f64_e32 v[17:18], 0.5, v[19:20]
	s_delay_alu instid0(VALU_DEP_4) | instskip(SKIP_1) | instid1(VALU_DEP_3)
	v_mul_f64_e32 v[2:3], 0.5, v[2:3]
	s_wait_loadcnt 0x1
	v_mul_f64_e32 v[15:16], v[8:9], v[6:7]
	s_delay_alu instid0(VALU_DEP_2) | instskip(SKIP_1) | instid1(VALU_DEP_3)
	v_fma_f64 v[19:20], v[17:18], v[6:7], v[2:3]
	v_fma_f64 v[6:7], v[17:18], v[6:7], -v[2:3]
	v_fma_f64 v[21:22], v[0:1], 0.5, v[15:16]
	v_fma_f64 v[15:16], v[0:1], 0.5, -v[15:16]
	s_delay_alu instid0(VALU_DEP_4) | instskip(NEXT) | instid1(VALU_DEP_4)
	v_fma_f64 v[2:3], -v[4:5], v[8:9], v[19:20]
	v_fma_f64 v[6:7], -v[4:5], v[8:9], v[6:7]
	v_lshlrev_b64_e32 v[8:9], 4, v[96:97]
	v_mov_b32_e32 v96, v92
	s_delay_alu instid0(VALU_DEP_2) | instskip(SKIP_1) | instid1(VALU_DEP_3)
	v_add_co_u32 v8, s1, s8, v8
	s_wait_alu 0xf1ff
	v_add_co_ci_u32_e64 v9, s1, s9, v9, s1
	v_fma_f64 v[0:1], v[17:18], v[4:5], v[21:22]
	v_fma_f64 v[4:5], -v[17:18], v[4:5], v[15:16]
	global_load_b128 v[15:18], v[8:9], off offset:26848
	ds_store_b128 v106, v[0:3]
	ds_store_b128 v10, v[4:7] offset:25088
	ds_load_b128 v[0:3], v105
	ds_load_b128 v[4:7], v10 offset:23296
	s_wait_dscnt 0x0
	v_add_f64_e64 v[8:9], v[0:1], -v[4:5]
	v_add_f64_e32 v[19:20], v[2:3], v[6:7]
	v_add_f64_e64 v[2:3], v[2:3], -v[6:7]
	v_add_f64_e32 v[0:1], v[0:1], v[4:5]
	s_delay_alu instid0(VALU_DEP_4) | instskip(NEXT) | instid1(VALU_DEP_4)
	v_mul_f64_e32 v[6:7], 0.5, v[8:9]
	v_mul_f64_e32 v[8:9], 0.5, v[19:20]
	s_delay_alu instid0(VALU_DEP_4) | instskip(SKIP_1) | instid1(VALU_DEP_3)
	v_mul_f64_e32 v[2:3], 0.5, v[2:3]
	s_wait_loadcnt 0x1
	v_mul_f64_e32 v[4:5], v[6:7], v[13:14]
	s_delay_alu instid0(VALU_DEP_2) | instskip(SKIP_1) | instid1(VALU_DEP_3)
	v_fma_f64 v[19:20], v[8:9], v[13:14], v[2:3]
	v_fma_f64 v[13:14], v[8:9], v[13:14], -v[2:3]
	v_fma_f64 v[21:22], v[0:1], 0.5, v[4:5]
	v_fma_f64 v[4:5], v[0:1], 0.5, -v[4:5]
	s_delay_alu instid0(VALU_DEP_4) | instskip(NEXT) | instid1(VALU_DEP_4)
	v_fma_f64 v[2:3], -v[11:12], v[6:7], v[19:20]
	v_fma_f64 v[6:7], -v[11:12], v[6:7], v[13:14]
	s_delay_alu instid0(VALU_DEP_4) | instskip(NEXT) | instid1(VALU_DEP_4)
	v_fma_f64 v[0:1], v[8:9], v[11:12], v[21:22]
	v_fma_f64 v[4:5], -v[8:9], v[11:12], v[4:5]
	v_lshlrev_b64_e32 v[8:9], 4, v[95:96]
	v_mov_b32_e32 v95, v92
	s_delay_alu instid0(VALU_DEP_2) | instskip(SKIP_1) | instid1(VALU_DEP_3)
	v_add_co_u32 v8, s1, s8, v8
	s_wait_alu 0xf1ff
	v_add_co_ci_u32_e64 v9, s1, s9, v9, s1
	global_load_b128 v[11:14], v[8:9], off offset:26848
	ds_store_b128 v105, v[0:3]
	ds_store_b128 v10, v[4:7] offset:23296
	ds_load_b128 v[0:3], v104
	ds_load_b128 v[4:7], v10 offset:21504
	s_wait_dscnt 0x0
	v_add_f64_e64 v[8:9], v[0:1], -v[4:5]
	v_add_f64_e32 v[19:20], v[2:3], v[6:7]
	v_add_f64_e64 v[2:3], v[2:3], -v[6:7]
	v_add_f64_e32 v[0:1], v[0:1], v[4:5]
	s_delay_alu instid0(VALU_DEP_4) | instskip(NEXT) | instid1(VALU_DEP_4)
	v_mul_f64_e32 v[6:7], 0.5, v[8:9]
	v_mul_f64_e32 v[8:9], 0.5, v[19:20]
	s_delay_alu instid0(VALU_DEP_4) | instskip(SKIP_1) | instid1(VALU_DEP_3)
	v_mul_f64_e32 v[2:3], 0.5, v[2:3]
	s_wait_loadcnt 0x1
	v_mul_f64_e32 v[4:5], v[6:7], v[17:18]
	s_delay_alu instid0(VALU_DEP_2) | instskip(SKIP_1) | instid1(VALU_DEP_3)
	v_fma_f64 v[19:20], v[8:9], v[17:18], v[2:3]
	v_fma_f64 v[17:18], v[8:9], v[17:18], -v[2:3]
	v_fma_f64 v[21:22], v[0:1], 0.5, v[4:5]
	v_fma_f64 v[4:5], v[0:1], 0.5, -v[4:5]
	s_delay_alu instid0(VALU_DEP_4) | instskip(NEXT) | instid1(VALU_DEP_4)
	v_fma_f64 v[2:3], -v[15:16], v[6:7], v[19:20]
	v_fma_f64 v[6:7], -v[15:16], v[6:7], v[17:18]
	s_delay_alu instid0(VALU_DEP_4) | instskip(NEXT) | instid1(VALU_DEP_4)
	v_fma_f64 v[0:1], v[8:9], v[15:16], v[21:22]
	v_fma_f64 v[4:5], -v[8:9], v[15:16], v[4:5]
	v_lshlrev_b64_e32 v[8:9], 4, v[94:95]
	v_mov_b32_e32 v94, v92
	s_delay_alu instid0(VALU_DEP_2) | instskip(SKIP_1) | instid1(VALU_DEP_3)
	v_add_co_u32 v8, s1, s8, v8
	s_wait_alu 0xf1ff
	v_add_co_ci_u32_e64 v9, s1, s9, v9, s1
	global_load_b128 v[15:18], v[8:9], off offset:26848
	ds_store_b128 v104, v[0:3]
	ds_store_b128 v10, v[4:7] offset:21504
	ds_load_b128 v[0:3], v103
	ds_load_b128 v[4:7], v10 offset:19712
	s_wait_dscnt 0x0
	v_add_f64_e64 v[8:9], v[0:1], -v[4:5]
	v_add_f64_e32 v[19:20], v[2:3], v[6:7]
	v_add_f64_e64 v[2:3], v[2:3], -v[6:7]
	v_add_f64_e32 v[0:1], v[0:1], v[4:5]
	s_delay_alu instid0(VALU_DEP_4) | instskip(NEXT) | instid1(VALU_DEP_4)
	v_mul_f64_e32 v[6:7], 0.5, v[8:9]
	v_mul_f64_e32 v[8:9], 0.5, v[19:20]
	s_delay_alu instid0(VALU_DEP_4) | instskip(SKIP_1) | instid1(VALU_DEP_3)
	v_mul_f64_e32 v[2:3], 0.5, v[2:3]
	s_wait_loadcnt 0x1
	v_mul_f64_e32 v[4:5], v[6:7], v[13:14]
	s_delay_alu instid0(VALU_DEP_2) | instskip(SKIP_1) | instid1(VALU_DEP_3)
	v_fma_f64 v[19:20], v[8:9], v[13:14], v[2:3]
	v_fma_f64 v[13:14], v[8:9], v[13:14], -v[2:3]
	v_fma_f64 v[21:22], v[0:1], 0.5, v[4:5]
	v_fma_f64 v[4:5], v[0:1], 0.5, -v[4:5]
	s_delay_alu instid0(VALU_DEP_4) | instskip(NEXT) | instid1(VALU_DEP_4)
	v_fma_f64 v[2:3], -v[11:12], v[6:7], v[19:20]
	v_fma_f64 v[6:7], -v[11:12], v[6:7], v[13:14]
	s_delay_alu instid0(VALU_DEP_4) | instskip(NEXT) | instid1(VALU_DEP_4)
	v_fma_f64 v[0:1], v[8:9], v[11:12], v[21:22]
	v_fma_f64 v[4:5], -v[8:9], v[11:12], v[4:5]
	v_lshlrev_b64_e32 v[8:9], 4, v[93:94]
	s_delay_alu instid0(VALU_DEP_1) | instskip(SKIP_1) | instid1(VALU_DEP_2)
	v_add_co_u32 v8, s1, s8, v8
	s_wait_alu 0xf1ff
	v_add_co_ci_u32_e64 v9, s1, s9, v9, s1
	global_load_b128 v[11:14], v[8:9], off offset:26848
	ds_store_b128 v103, v[0:3]
	ds_store_b128 v10, v[4:7] offset:19712
	ds_load_b128 v[0:3], v102
	ds_load_b128 v[4:7], v10 offset:17920
	s_wait_dscnt 0x0
	v_add_f64_e64 v[8:9], v[0:1], -v[4:5]
	v_add_f64_e32 v[19:20], v[2:3], v[6:7]
	v_add_f64_e64 v[2:3], v[2:3], -v[6:7]
	v_add_f64_e32 v[0:1], v[0:1], v[4:5]
	s_delay_alu instid0(VALU_DEP_4) | instskip(NEXT) | instid1(VALU_DEP_4)
	v_mul_f64_e32 v[6:7], 0.5, v[8:9]
	v_mul_f64_e32 v[8:9], 0.5, v[19:20]
	s_delay_alu instid0(VALU_DEP_4) | instskip(SKIP_1) | instid1(VALU_DEP_3)
	v_mul_f64_e32 v[2:3], 0.5, v[2:3]
	s_wait_loadcnt 0x1
	v_mul_f64_e32 v[4:5], v[6:7], v[17:18]
	s_delay_alu instid0(VALU_DEP_2) | instskip(SKIP_1) | instid1(VALU_DEP_3)
	v_fma_f64 v[19:20], v[8:9], v[17:18], v[2:3]
	v_fma_f64 v[17:18], v[8:9], v[17:18], -v[2:3]
	v_fma_f64 v[21:22], v[0:1], 0.5, v[4:5]
	v_fma_f64 v[4:5], v[0:1], 0.5, -v[4:5]
	s_delay_alu instid0(VALU_DEP_4) | instskip(NEXT) | instid1(VALU_DEP_4)
	v_fma_f64 v[2:3], -v[15:16], v[6:7], v[19:20]
	v_fma_f64 v[6:7], -v[15:16], v[6:7], v[17:18]
	s_delay_alu instid0(VALU_DEP_4) | instskip(NEXT) | instid1(VALU_DEP_4)
	v_fma_f64 v[0:1], v[8:9], v[15:16], v[21:22]
	v_fma_f64 v[4:5], -v[8:9], v[15:16], v[4:5]
	ds_store_b128 v102, v[0:3]
	ds_store_b128 v10, v[4:7] offset:17920
	ds_load_b128 v[0:3], v101
	ds_load_b128 v[4:7], v10 offset:16128
	s_wait_dscnt 0x0
	v_add_f64_e64 v[8:9], v[0:1], -v[4:5]
	v_add_f64_e32 v[15:16], v[2:3], v[6:7]
	v_add_f64_e64 v[2:3], v[2:3], -v[6:7]
	v_add_f64_e32 v[0:1], v[0:1], v[4:5]
	s_delay_alu instid0(VALU_DEP_4) | instskip(NEXT) | instid1(VALU_DEP_4)
	v_mul_f64_e32 v[6:7], 0.5, v[8:9]
	v_mul_f64_e32 v[8:9], 0.5, v[15:16]
	s_delay_alu instid0(VALU_DEP_4) | instskip(SKIP_1) | instid1(VALU_DEP_3)
	v_mul_f64_e32 v[2:3], 0.5, v[2:3]
	s_wait_loadcnt 0x0
	v_mul_f64_e32 v[4:5], v[6:7], v[13:14]
	s_delay_alu instid0(VALU_DEP_2) | instskip(SKIP_1) | instid1(VALU_DEP_3)
	v_fma_f64 v[15:16], v[8:9], v[13:14], v[2:3]
	v_fma_f64 v[13:14], v[8:9], v[13:14], -v[2:3]
	v_fma_f64 v[17:18], v[0:1], 0.5, v[4:5]
	v_fma_f64 v[4:5], v[0:1], 0.5, -v[4:5]
	s_delay_alu instid0(VALU_DEP_4) | instskip(NEXT) | instid1(VALU_DEP_4)
	v_fma_f64 v[2:3], -v[11:12], v[6:7], v[15:16]
	v_fma_f64 v[6:7], -v[11:12], v[6:7], v[13:14]
	s_delay_alu instid0(VALU_DEP_4) | instskip(NEXT) | instid1(VALU_DEP_4)
	v_fma_f64 v[0:1], v[8:9], v[11:12], v[17:18]
	v_fma_f64 v[4:5], -v[8:9], v[11:12], v[4:5]
	ds_store_b128 v101, v[0:3]
	ds_store_b128 v10, v[4:7] offset:16128
	s_and_saveexec_b32 s1, s0
	s_cbranch_execz .LBB0_37
; %bb.36:
	v_mov_b32_e32 v91, v92
	s_delay_alu instid0(VALU_DEP_1) | instskip(NEXT) | instid1(VALU_DEP_1)
	v_lshlrev_b64_e32 v[0:1], 4, v[90:91]
	v_add_co_u32 v0, s0, s8, v0
	s_wait_alu 0xf1ff
	s_delay_alu instid0(VALU_DEP_2)
	v_add_co_ci_u32_e64 v1, s0, s9, v1, s0
	global_load_b128 v[0:3], v[0:1], off offset:26848
	ds_load_b128 v[4:7], v99
	ds_load_b128 v[11:14], v10 offset:14336
	s_wait_dscnt 0x0
	v_add_f64_e64 v[8:9], v[4:5], -v[11:12]
	v_add_f64_e32 v[15:16], v[6:7], v[13:14]
	v_add_f64_e64 v[6:7], v[6:7], -v[13:14]
	v_add_f64_e32 v[4:5], v[4:5], v[11:12]
	s_delay_alu instid0(VALU_DEP_4) | instskip(NEXT) | instid1(VALU_DEP_4)
	v_mul_f64_e32 v[8:9], 0.5, v[8:9]
	v_mul_f64_e32 v[13:14], 0.5, v[15:16]
	s_delay_alu instid0(VALU_DEP_4) | instskip(SKIP_1) | instid1(VALU_DEP_3)
	v_mul_f64_e32 v[6:7], 0.5, v[6:7]
	s_wait_loadcnt 0x0
	v_mul_f64_e32 v[11:12], v[8:9], v[2:3]
	s_delay_alu instid0(VALU_DEP_2) | instskip(SKIP_1) | instid1(VALU_DEP_3)
	v_fma_f64 v[15:16], v[13:14], v[2:3], v[6:7]
	v_fma_f64 v[2:3], v[13:14], v[2:3], -v[6:7]
	v_fma_f64 v[6:7], v[4:5], 0.5, v[11:12]
	v_fma_f64 v[11:12], v[4:5], 0.5, -v[11:12]
	s_delay_alu instid0(VALU_DEP_4) | instskip(NEXT) | instid1(VALU_DEP_4)
	v_fma_f64 v[4:5], -v[0:1], v[8:9], v[15:16]
	v_fma_f64 v[8:9], -v[0:1], v[8:9], v[2:3]
	s_delay_alu instid0(VALU_DEP_4) | instskip(NEXT) | instid1(VALU_DEP_4)
	v_fma_f64 v[2:3], v[13:14], v[0:1], v[6:7]
	v_fma_f64 v[6:7], -v[13:14], v[0:1], v[11:12]
	ds_store_b128 v99, v[2:5]
	ds_store_b128 v10, v[6:9] offset:14336
.LBB0_37:
	s_wait_alu 0xfffe
	s_or_b32 exec_lo, exec_lo, s1
	global_wb scope:SCOPE_SE
	s_wait_dscnt 0x0
	s_barrier_signal -1
	s_barrier_wait -1
	global_inv scope:SCOPE_SE
	s_and_saveexec_b32 s0, vcc_lo
	s_cbranch_execz .LBB0_40
; %bb.38:
	v_mul_lo_u32 v2, s3, v88
	v_mul_lo_u32 v3, s2, v89
	v_mad_co_u64_u32 v[0:1], null, s2, v88, 0
	v_lshl_add_u32 v31, v86, 4, 0
	v_dual_mov_b32 v87, 0 :: v_dual_add_nc_u32 v12, 0x70, v86
	v_lshlrev_b64_e32 v[10:11], 4, v[84:85]
	v_add_nc_u32_e32 v26, 0x2a0, v86
	v_add_nc_u32_e32 v30, 0x620, v86
	v_add3_u32 v1, v1, v3, v2
	ds_load_b128 v[2:5], v31
	ds_load_b128 v[6:9], v31 offset:1792
	v_mov_b32_e32 v13, v87
	v_lshlrev_b64_e32 v[14:15], 4, v[86:87]
	v_mov_b32_e32 v25, v87
	v_lshlrev_b64_e32 v[0:1], 4, v[0:1]
	v_dual_mov_b32 v27, v87 :: v_dual_add_nc_u32 v24, 0x230, v86
	s_delay_alu instid0(VALU_DEP_2) | instskip(SKIP_1) | instid1(VALU_DEP_3)
	v_add_co_u32 v0, vcc_lo, s6, v0
	s_wait_alu 0xfffd
	v_add_co_ci_u32_e32 v1, vcc_lo, s7, v1, vcc_lo
	s_delay_alu instid0(VALU_DEP_3) | instskip(NEXT) | instid1(VALU_DEP_3)
	v_lshlrev_b64_e32 v[24:25], 4, v[24:25]
	v_add_co_u32 v0, vcc_lo, v0, v10
	s_wait_alu 0xfffd
	s_delay_alu instid0(VALU_DEP_3) | instskip(SKIP_1) | instid1(VALU_DEP_3)
	v_add_co_ci_u32_e32 v1, vcc_lo, v1, v11, vcc_lo
	v_lshlrev_b64_e32 v[10:11], 4, v[12:13]
	v_add_co_u32 v12, vcc_lo, v0, v14
	s_wait_alu 0xfffd
	s_delay_alu instid0(VALU_DEP_3) | instskip(SKIP_1) | instid1(VALU_DEP_4)
	v_add_co_ci_u32_e32 v13, vcc_lo, v1, v15, vcc_lo
	v_add_nc_u32_e32 v14, 0xe0, v86
	v_add_co_u32 v10, vcc_lo, v0, v10
	v_mov_b32_e32 v15, v87
	s_wait_alu 0xfffd
	v_add_co_ci_u32_e32 v11, vcc_lo, v1, v11, vcc_lo
	s_wait_dscnt 0x1
	global_store_b128 v[12:13], v[2:5], off
	s_wait_dscnt 0x0
	global_store_b128 v[10:11], v[6:9], off
	v_add_nc_u32_e32 v10, 0x150, v86
	v_lshlrev_b64_e32 v[2:3], 4, v[14:15]
	v_dual_mov_b32 v11, v87 :: v_dual_add_nc_u32 v12, 0x1c0, v86
	v_mov_b32_e32 v13, v87
	s_delay_alu instid0(VALU_DEP_3) | instskip(SKIP_1) | instid1(VALU_DEP_4)
	v_add_co_u32 v18, vcc_lo, v0, v2
	s_wait_alu 0xfffd
	v_add_co_ci_u32_e32 v19, vcc_lo, v1, v3, vcc_lo
	ds_load_b128 v[2:5], v31 offset:3584
	ds_load_b128 v[6:9], v31 offset:5376
	v_lshlrev_b64_e32 v[20:21], 4, v[10:11]
	v_lshlrev_b64_e32 v[22:23], 4, v[12:13]
	ds_load_b128 v[10:13], v31 offset:7168
	ds_load_b128 v[14:17], v31 offset:8960
	v_add_co_u32 v20, vcc_lo, v0, v20
	s_wait_alu 0xfffd
	v_add_co_ci_u32_e32 v21, vcc_lo, v1, v21, vcc_lo
	v_add_co_u32 v22, vcc_lo, v0, v22
	s_wait_alu 0xfffd
	v_add_co_ci_u32_e32 v23, vcc_lo, v1, v23, vcc_lo
	;; [unrolled: 3-line block ×3, first 2 shown]
	s_wait_dscnt 0x3
	global_store_b128 v[18:19], v[2:5], off
	s_wait_dscnt 0x2
	global_store_b128 v[20:21], v[6:9], off
	;; [unrolled: 2-line block ×4, first 2 shown]
	v_add_nc_u32_e32 v10, 0x310, v86
	v_lshlrev_b64_e32 v[2:3], 4, v[26:27]
	v_dual_mov_b32 v11, v87 :: v_dual_add_nc_u32 v12, 0x380, v86
	v_dual_mov_b32 v13, v87 :: v_dual_add_nc_u32 v24, 0x3f0, v86
	;; [unrolled: 1-line block ×3, first 2 shown]
	s_delay_alu instid0(VALU_DEP_4)
	v_add_co_u32 v18, vcc_lo, v0, v2
	s_wait_alu 0xfffd
	v_add_co_ci_u32_e32 v19, vcc_lo, v1, v3, vcc_lo
	ds_load_b128 v[2:5], v31 offset:10752
	ds_load_b128 v[6:9], v31 offset:12544
	v_lshlrev_b64_e32 v[20:21], 4, v[10:11]
	v_lshlrev_b64_e32 v[22:23], 4, v[12:13]
	ds_load_b128 v[10:13], v31 offset:14336
	ds_load_b128 v[14:17], v31 offset:16128
	v_lshlrev_b64_e32 v[24:25], 4, v[24:25]
	v_add_co_u32 v20, vcc_lo, v0, v20
	s_wait_alu 0xfffd
	v_add_co_ci_u32_e32 v21, vcc_lo, v1, v21, vcc_lo
	v_add_co_u32 v22, vcc_lo, v0, v22
	s_wait_alu 0xfffd
	v_add_co_ci_u32_e32 v23, vcc_lo, v1, v23, vcc_lo
	;; [unrolled: 3-line block ×3, first 2 shown]
	s_wait_dscnt 0x3
	global_store_b128 v[18:19], v[2:5], off
	s_wait_dscnt 0x2
	global_store_b128 v[20:21], v[6:9], off
	;; [unrolled: 2-line block ×4, first 2 shown]
	v_dual_mov_b32 v11, v87 :: v_dual_add_nc_u32 v10, 0x4d0, v86
	v_lshlrev_b64_e32 v[2:3], 4, v[26:27]
	v_dual_mov_b32 v13, v87 :: v_dual_add_nc_u32 v12, 0x540, v86
	v_dual_mov_b32 v19, v87 :: v_dual_add_nc_u32 v18, 0x5b0, v86
	s_delay_alu instid0(VALU_DEP_4) | instskip(NEXT) | instid1(VALU_DEP_4)
	v_lshlrev_b64_e32 v[10:11], 4, v[10:11]
	v_add_co_u32 v22, vcc_lo, v0, v2
	s_wait_alu 0xfffd
	v_add_co_ci_u32_e32 v23, vcc_lo, v1, v3, vcc_lo
	ds_load_b128 v[2:5], v31 offset:17920
	ds_load_b128 v[6:9], v31 offset:19712
	v_add_co_u32 v24, vcc_lo, v0, v10
	s_wait_alu 0xfffd
	v_add_co_ci_u32_e32 v25, vcc_lo, v1, v11, vcc_lo
	v_lshlrev_b64_e32 v[26:27], 4, v[12:13]
	ds_load_b128 v[10:13], v31 offset:21504
	ds_load_b128 v[14:17], v31 offset:23296
	v_lshlrev_b64_e32 v[28:29], 4, v[18:19]
	ds_load_b128 v[18:21], v31 offset:25088
	v_mov_b32_e32 v31, v87
	v_add_co_u32 v26, vcc_lo, v0, v26
	s_wait_alu 0xfffd
	v_add_co_ci_u32_e32 v27, vcc_lo, v1, v27, vcc_lo
	s_delay_alu instid0(VALU_DEP_3) | instskip(SKIP_3) | instid1(VALU_DEP_3)
	v_lshlrev_b64_e32 v[30:31], 4, v[30:31]
	v_add_co_u32 v28, vcc_lo, v0, v28
	s_wait_alu 0xfffd
	v_add_co_ci_u32_e32 v29, vcc_lo, v1, v29, vcc_lo
	v_add_co_u32 v30, vcc_lo, v0, v30
	s_wait_alu 0xfffd
	v_add_co_ci_u32_e32 v31, vcc_lo, v1, v31, vcc_lo
	v_cmp_eq_u32_e32 vcc_lo, 0x6f, v86
	s_wait_dscnt 0x4
	global_store_b128 v[22:23], v[2:5], off
	s_wait_dscnt 0x3
	global_store_b128 v[24:25], v[6:9], off
	;; [unrolled: 2-line block ×5, first 2 shown]
	s_and_b32 exec_lo, exec_lo, vcc_lo
	s_cbranch_execz .LBB0_40
; %bb.39:
	ds_load_b128 v[2:5], v87 offset:26880
	s_wait_dscnt 0x0
	global_store_b128 v[0:1], v[2:5], off offset:26880
.LBB0_40:
	s_nop 0
	s_sendmsg sendmsg(MSG_DEALLOC_VGPRS)
	s_endpgm
	.section	.rodata,"a",@progbits
	.p2align	6, 0x0
	.amdhsa_kernel fft_rtc_back_len1680_factors_2_2_2_2_3_7_5_wgs_112_tpt_112_halfLds_dp_op_CI_CI_unitstride_sbrr_R2C_dirReg
		.amdhsa_group_segment_fixed_size 0
		.amdhsa_private_segment_fixed_size 0
		.amdhsa_kernarg_size 104
		.amdhsa_user_sgpr_count 2
		.amdhsa_user_sgpr_dispatch_ptr 0
		.amdhsa_user_sgpr_queue_ptr 0
		.amdhsa_user_sgpr_kernarg_segment_ptr 1
		.amdhsa_user_sgpr_dispatch_id 0
		.amdhsa_user_sgpr_private_segment_size 0
		.amdhsa_wavefront_size32 1
		.amdhsa_uses_dynamic_stack 0
		.amdhsa_enable_private_segment 0
		.amdhsa_system_sgpr_workgroup_id_x 1
		.amdhsa_system_sgpr_workgroup_id_y 0
		.amdhsa_system_sgpr_workgroup_id_z 0
		.amdhsa_system_sgpr_workgroup_info 0
		.amdhsa_system_vgpr_workitem_id 0
		.amdhsa_next_free_vgpr 177
		.amdhsa_next_free_sgpr 39
		.amdhsa_reserve_vcc 1
		.amdhsa_float_round_mode_32 0
		.amdhsa_float_round_mode_16_64 0
		.amdhsa_float_denorm_mode_32 3
		.amdhsa_float_denorm_mode_16_64 3
		.amdhsa_fp16_overflow 0
		.amdhsa_workgroup_processor_mode 1
		.amdhsa_memory_ordered 1
		.amdhsa_forward_progress 0
		.amdhsa_round_robin_scheduling 0
		.amdhsa_exception_fp_ieee_invalid_op 0
		.amdhsa_exception_fp_denorm_src 0
		.amdhsa_exception_fp_ieee_div_zero 0
		.amdhsa_exception_fp_ieee_overflow 0
		.amdhsa_exception_fp_ieee_underflow 0
		.amdhsa_exception_fp_ieee_inexact 0
		.amdhsa_exception_int_div_zero 0
	.end_amdhsa_kernel
	.text
.Lfunc_end0:
	.size	fft_rtc_back_len1680_factors_2_2_2_2_3_7_5_wgs_112_tpt_112_halfLds_dp_op_CI_CI_unitstride_sbrr_R2C_dirReg, .Lfunc_end0-fft_rtc_back_len1680_factors_2_2_2_2_3_7_5_wgs_112_tpt_112_halfLds_dp_op_CI_CI_unitstride_sbrr_R2C_dirReg
                                        ; -- End function
	.section	.AMDGPU.csdata,"",@progbits
; Kernel info:
; codeLenInByte = 15072
; NumSgprs: 41
; NumVgprs: 177
; ScratchSize: 0
; MemoryBound: 0
; FloatMode: 240
; IeeeMode: 1
; LDSByteSize: 0 bytes/workgroup (compile time only)
; SGPRBlocks: 5
; VGPRBlocks: 22
; NumSGPRsForWavesPerEU: 41
; NumVGPRsForWavesPerEU: 177
; Occupancy: 8
; WaveLimiterHint : 1
; COMPUTE_PGM_RSRC2:SCRATCH_EN: 0
; COMPUTE_PGM_RSRC2:USER_SGPR: 2
; COMPUTE_PGM_RSRC2:TRAP_HANDLER: 0
; COMPUTE_PGM_RSRC2:TGID_X_EN: 1
; COMPUTE_PGM_RSRC2:TGID_Y_EN: 0
; COMPUTE_PGM_RSRC2:TGID_Z_EN: 0
; COMPUTE_PGM_RSRC2:TIDIG_COMP_CNT: 0
	.text
	.p2alignl 7, 3214868480
	.fill 96, 4, 3214868480
	.type	__hip_cuid_131c820adcab9d69,@object ; @__hip_cuid_131c820adcab9d69
	.section	.bss,"aw",@nobits
	.globl	__hip_cuid_131c820adcab9d69
__hip_cuid_131c820adcab9d69:
	.byte	0                               ; 0x0
	.size	__hip_cuid_131c820adcab9d69, 1

	.ident	"AMD clang version 19.0.0git (https://github.com/RadeonOpenCompute/llvm-project roc-6.4.0 25133 c7fe45cf4b819c5991fe208aaa96edf142730f1d)"
	.section	".note.GNU-stack","",@progbits
	.addrsig
	.addrsig_sym __hip_cuid_131c820adcab9d69
	.amdgpu_metadata
---
amdhsa.kernels:
  - .args:
      - .actual_access:  read_only
        .address_space:  global
        .offset:         0
        .size:           8
        .value_kind:     global_buffer
      - .offset:         8
        .size:           8
        .value_kind:     by_value
      - .actual_access:  read_only
        .address_space:  global
        .offset:         16
        .size:           8
        .value_kind:     global_buffer
      - .actual_access:  read_only
        .address_space:  global
        .offset:         24
        .size:           8
        .value_kind:     global_buffer
      - .actual_access:  read_only
        .address_space:  global
        .offset:         32
        .size:           8
        .value_kind:     global_buffer
      - .offset:         40
        .size:           8
        .value_kind:     by_value
      - .actual_access:  read_only
        .address_space:  global
        .offset:         48
        .size:           8
        .value_kind:     global_buffer
      - .actual_access:  read_only
        .address_space:  global
        .offset:         56
        .size:           8
        .value_kind:     global_buffer
      - .offset:         64
        .size:           4
        .value_kind:     by_value
      - .actual_access:  read_only
        .address_space:  global
        .offset:         72
        .size:           8
        .value_kind:     global_buffer
      - .actual_access:  read_only
        .address_space:  global
        .offset:         80
        .size:           8
        .value_kind:     global_buffer
      - .actual_access:  read_only
        .address_space:  global
        .offset:         88
        .size:           8
        .value_kind:     global_buffer
      - .actual_access:  write_only
        .address_space:  global
        .offset:         96
        .size:           8
        .value_kind:     global_buffer
    .group_segment_fixed_size: 0
    .kernarg_segment_align: 8
    .kernarg_segment_size: 104
    .language:       OpenCL C
    .language_version:
      - 2
      - 0
    .max_flat_workgroup_size: 112
    .name:           fft_rtc_back_len1680_factors_2_2_2_2_3_7_5_wgs_112_tpt_112_halfLds_dp_op_CI_CI_unitstride_sbrr_R2C_dirReg
    .private_segment_fixed_size: 0
    .sgpr_count:     41
    .sgpr_spill_count: 0
    .symbol:         fft_rtc_back_len1680_factors_2_2_2_2_3_7_5_wgs_112_tpt_112_halfLds_dp_op_CI_CI_unitstride_sbrr_R2C_dirReg.kd
    .uniform_work_group_size: 1
    .uses_dynamic_stack: false
    .vgpr_count:     177
    .vgpr_spill_count: 0
    .wavefront_size: 32
    .workgroup_processor_mode: 1
amdhsa.target:   amdgcn-amd-amdhsa--gfx1201
amdhsa.version:
  - 1
  - 2
...

	.end_amdgpu_metadata
